;; amdgpu-corpus repo=zjin-lcf/HeCBench kind=compiled arch=gfx906 opt=O3
	.amdgcn_target "amdgcn-amd-amdhsa--gfx906"
	.amdhsa_code_object_version 6
	.text
	.protected	_Z21create_seq_gpu_kernelPiddii ; -- Begin function _Z21create_seq_gpu_kernelPiddii
	.globl	_Z21create_seq_gpu_kernelPiddii
	.p2align	8
	.type	_Z21create_seq_gpu_kernelPiddii,@function
_Z21create_seq_gpu_kernelPiddii:        ; @_Z21create_seq_gpu_kernelPiddii
; %bb.0:
	s_load_dword s10, s[4:5], 0x1c
	s_load_dword s7, s[4:5], 0x2c
	s_load_dwordx4 s[0:3], s[4:5], 0x0
	s_load_dwordx2 s[8:9], s[4:5], 0x10
	s_mov_b32 s12, 0
	s_waitcnt lgkmcnt(0)
	s_abs_i32 s18, s10
	v_cvt_f32_u32_e32 v1, s18
	s_and_b32 s4, s7, 0xffff
	s_mul_i32 s6, s6, s4
	s_sub_i32 s4, 0, s18
	v_rcp_iflag_f32_e32 v1, v1
	s_add_i32 s20, s10, 0xffff
	s_abs_i32 s19, s20
	v_add_u32_e32 v6, s6, v0
	v_mul_f32_e32 v1, 0x4f7ffffe, v1
	v_cvt_u32_f32_e32 v1, v1
	v_mov_b32_e32 v9, s3
	v_cmp_ne_u32_e32 vcc, 0, v6
	v_mov_b32_e32 v8, s2
	v_readfirstlane_b32 s5, v1
	s_mul_i32 s4, s4, s5
	s_mul_hi_u32 s4, s5, s4
	s_add_i32 s5, s5, s4
	s_mul_hi_u32 s21, s19, s5
	s_and_saveexec_b64 s[4:5], vcc
	s_cbranch_execz .LBB0_13
; %bb.1:
	s_ashr_i32 s11, s10, 31
	s_add_u32 s6, s10, 0xffff
	s_addc_u32 s7, s11, 0
	s_or_b64 s[14:15], s[6:7], s[10:11]
	s_mov_b32 s13, s15
	s_cmp_lg_u64 s[12:13], 0
	s_cbranch_scc0 .LBB0_17
; %bb.2:
	s_ashr_i32 s12, s11, 31
	s_add_u32 s14, s10, s12
	s_mov_b32 s13, s12
	s_addc_u32 s15, s11, s12
	s_xor_b64 s[16:17], s[14:15], s[12:13]
	v_cvt_f32_u32_e32 v0, s16
	v_cvt_f32_u32_e32 v1, s17
	s_sub_u32 s11, 0, s16
	s_subb_u32 s24, 0, s17
	v_madmk_f32 v0, v1, 0x4f800000, v0
	v_rcp_f32_e32 v0, v0
	v_mul_f32_e32 v0, 0x5f7ffffc, v0
	v_mul_f32_e32 v1, 0x2f800000, v0
	v_trunc_f32_e32 v1, v1
	v_madmk_f32 v0, v1, 0xcf800000, v0
	v_cvt_u32_f32_e32 v1, v1
	v_cvt_u32_f32_e32 v0, v0
	v_readfirstlane_b32 s25, v1
	v_readfirstlane_b32 s22, v0
	s_mul_i32 s23, s11, s25
	s_mul_hi_u32 s27, s11, s22
	s_mul_i32 s26, s24, s22
	s_add_i32 s23, s27, s23
	s_add_i32 s23, s23, s26
	s_mul_i32 s28, s11, s22
	s_mul_i32 s27, s22, s23
	s_mul_hi_u32 s29, s22, s28
	s_mul_hi_u32 s26, s22, s23
	s_add_u32 s27, s29, s27
	s_addc_u32 s26, 0, s26
	s_mul_hi_u32 s30, s25, s28
	s_mul_i32 s28, s25, s28
	s_add_u32 s27, s27, s28
	s_mul_hi_u32 s29, s25, s23
	s_addc_u32 s26, s26, s30
	s_addc_u32 s27, s29, 0
	s_mul_i32 s23, s25, s23
	s_add_u32 s23, s26, s23
	s_addc_u32 s26, 0, s27
	s_add_u32 s27, s22, s23
	s_cselect_b64 s[22:23], -1, 0
	s_cmp_lg_u64 s[22:23], 0
	s_addc_u32 s25, s25, s26
	s_mul_i32 s22, s11, s25
	s_mul_hi_u32 s23, s11, s27
	s_add_i32 s22, s23, s22
	s_mul_i32 s24, s24, s27
	s_add_i32 s22, s22, s24
	s_mul_i32 s11, s11, s27
	s_mul_hi_u32 s24, s25, s11
	s_mul_i32 s26, s25, s11
	s_mul_i32 s29, s27, s22
	s_mul_hi_u32 s11, s27, s11
	s_mul_hi_u32 s28, s27, s22
	s_add_u32 s11, s11, s29
	s_addc_u32 s28, 0, s28
	s_add_u32 s11, s11, s26
	s_mul_hi_u32 s23, s25, s22
	s_addc_u32 s11, s28, s24
	s_addc_u32 s23, s23, 0
	s_mul_i32 s22, s25, s22
	s_add_u32 s11, s11, s22
	s_addc_u32 s24, 0, s23
	s_add_u32 s11, s27, s11
	s_cselect_b64 s[22:23], -1, 0
	s_cmp_lg_u64 s[22:23], 0
	s_addc_u32 s26, s25, s24
	s_ashr_i32 s22, s7, 31
	s_add_u32 s24, s6, s22
	s_mov_b32 s23, s22
	s_addc_u32 s25, s7, s22
	s_xor_b64 s[24:25], s[24:25], s[22:23]
	s_mul_i32 s27, s24, s26
	s_mul_hi_u32 s28, s24, s11
	s_mul_hi_u32 s7, s24, s26
	s_add_u32 s27, s28, s27
	s_addc_u32 s7, 0, s7
	s_mul_hi_u32 s29, s25, s11
	s_mul_i32 s11, s25, s11
	s_add_u32 s11, s27, s11
	s_mul_hi_u32 s28, s25, s26
	s_addc_u32 s7, s7, s29
	s_addc_u32 s11, s28, 0
	s_mul_i32 s26, s25, s26
	s_add_u32 s7, s7, s26
	s_addc_u32 s11, 0, s11
	s_mul_i32 s26, s16, s11
	s_mul_hi_u32 s27, s16, s7
	s_add_i32 s26, s27, s26
	s_mul_i32 s27, s17, s7
	s_add_i32 s30, s26, s27
	s_sub_i32 s28, s25, s30
	s_mul_i32 s26, s16, s7
	s_sub_u32 s24, s24, s26
	s_cselect_b64 s[26:27], -1, 0
	s_cmp_lg_u64 s[26:27], 0
	s_subb_u32 s31, s28, s17
	s_sub_u32 s33, s24, s16
	s_cselect_b64 s[28:29], -1, 0
	s_cmp_lg_u64 s[28:29], 0
	s_subb_u32 s28, s31, 0
	s_cmp_ge_u32 s28, s17
	s_cselect_b32 s29, -1, 0
	s_cmp_ge_u32 s33, s16
	s_cselect_b32 s31, -1, 0
	s_cmp_eq_u32 s28, s17
	s_cselect_b32 s28, s31, s29
	s_add_u32 s29, s7, 1
	s_addc_u32 s31, s11, 0
	s_add_u32 s33, s7, 2
	s_addc_u32 s34, s11, 0
	s_cmp_lg_u32 s28, 0
	s_cselect_b32 s28, s33, s29
	s_cselect_b32 s29, s34, s31
	s_cmp_lg_u64 s[26:27], 0
	s_subb_u32 s25, s25, s30
	s_cmp_ge_u32 s25, s17
	s_cselect_b32 s26, -1, 0
	s_cmp_ge_u32 s24, s16
	s_cselect_b32 s16, -1, 0
	s_cmp_eq_u32 s25, s17
	s_cselect_b32 s16, s16, s26
	s_cmp_lg_u32 s16, 0
	s_cselect_b32 s17, s29, s11
	s_cselect_b32 s16, s28, s7
	s_xor_b64 s[12:13], s[22:23], s[12:13]
	s_xor_b64 s[16:17], s[16:17], s[12:13]
	s_sub_u32 s12, s16, s12
	s_subb_u32 s13, s17, s13
	s_cbranch_execnz .LBB0_4
.LBB0_3:
	v_cvt_f32_u32_e32 v0, s10
	s_sub_i32 s7, 0, s10
	s_mov_b32 s13, 0
	v_rcp_iflag_f32_e32 v0, v0
	v_mul_f32_e32 v0, 0x4f7ffffe, v0
	v_cvt_u32_f32_e32 v0, v0
	v_readfirstlane_b32 s11, v0
	s_mul_i32 s7, s7, s11
	s_mul_hi_u32 s7, s11, s7
	s_add_i32 s11, s11, s7
	s_mul_hi_u32 s7, s6, s11
	s_mul_i32 s12, s7, s10
	s_sub_i32 s6, s6, s12
	s_add_i32 s11, s7, 1
	s_sub_i32 s12, s6, s10
	s_cmp_ge_u32 s6, s10
	s_cselect_b32 s7, s11, s7
	s_cselect_b32 s6, s12, s6
	s_add_i32 s11, s7, 1
	s_cmp_ge_u32 s6, s10
	s_cselect_b32 s12, s11, s7
.LBB0_4:
	v_ashrrev_i32_e32 v2, 31, v6
	v_mul_lo_u32 v3, v6, s13
	v_mad_u64_u32 v[0:1], s[6:7], v6, s12, 0
	v_mul_lo_u32 v2, v2, s12
	v_add3_u32 v1, v1, v3, v2
	v_lshlrev_b64 v[4:5], 2, v[0:1]
	v_mov_b32_e32 v0, s8
	v_cmp_lt_i64_e32 vcc, 1, v[4:5]
	v_mov_b32_e32 v2, s2
	v_mov_b32_e32 v1, s9
	;; [unrolled: 1-line block ×3, first 2 shown]
	s_and_saveexec_b64 s[6:7], vcc
	s_cbranch_execz .LBB0_12
; %bb.5:
	v_mov_b32_e32 v2, s2
	v_mov_b32_e32 v0, s8
	;; [unrolled: 1-line block ×3, first 2 shown]
	s_mov_b32 s2, 0
	s_mov_b32 s14, 0
	s_mov_b64 s[12:13], 0
	v_mov_b32_e32 v1, s9
	s_movk_i32 s11, 0xffe9
	s_mov_b32 s3, 0xc1600000
	s_mov_b32 s15, 0xc2d00000
	s_movk_i32 s22, 0xffd2
	s_branch .LBB0_7
.LBB0_6:                                ;   in Loop: Header=BB0_7 Depth=1
	s_or_b64 exec, exec, s[16:17]
	v_cmp_gt_u64_e32 vcc, 2, v[4:5]
	s_or_b64 s[12:13], vcc, s[12:13]
	s_andn2_b64 exec, exec, s[12:13]
	s_cbranch_execz .LBB0_11
.LBB0_7:                                ; =>This Inner Loop Header: Depth=1
	v_ldexp_f64 v[7:8], v[0:1], s11
	v_cvt_i32_f64_e32 v7, v[7:8]
	v_and_b32_e32 v8, 1, v4
	v_cmp_eq_u32_e32 vcc, 1, v8
	s_and_saveexec_b64 s[16:17], vcc
	s_xor_b64 s[16:17], exec, s[16:17]
	s_cbranch_execz .LBB0_9
; %bb.8:                                ;   in Loop: Header=BB0_7 Depth=1
	v_ldexp_f64 v[8:9], v[2:3], s11
	v_cvt_f64_i32_e32 v[10:11], v7
	v_add_co_u32_e32 v4, vcc, -1, v4
	v_addc_co_u32_e32 v5, vcc, -1, v5, vcc
	v_fma_f64 v[12:13], v[10:11], s[2:3], v[0:1]
	v_cvt_i32_f64_e32 v8, v[8:9]
	v_cvt_f64_i32_e32 v[8:9], v8
	v_fma_f64 v[2:3], v[8:9], s[2:3], v[2:3]
	v_mul_f64 v[10:11], v[2:3], v[10:11]
	v_fma_f64 v[7:8], v[12:13], v[8:9], v[10:11]
	v_ldexp_f64 v[9:10], v[7:8], s11
	v_cvt_i32_f64_e32 v9, v[9:10]
	v_cvt_f64_i32_e32 v[9:10], v9
	v_fma_f64 v[7:8], v[9:10], s[2:3], v[7:8]
	v_ldexp_f64 v[7:8], v[7:8], 23
	v_fma_f64 v[2:3], v[12:13], v[2:3], v[7:8]
	v_ldexp_f64 v[7:8], v[2:3], s22
	v_cvt_i32_f64_e32 v7, v[7:8]
	v_cvt_f64_i32_e32 v[7:8], v7
	v_fma_f64 v[2:3], v[7:8], s[14:15], v[2:3]
                                        ; implicit-def: $vgpr7
.LBB0_9:                                ;   in Loop: Header=BB0_7 Depth=1
	s_andn2_saveexec_b64 s[16:17], s[16:17]
	s_cbranch_execz .LBB0_6
; %bb.10:                               ;   in Loop: Header=BB0_7 Depth=1
	v_cvt_f64_i32_e32 v[7:8], v7
	v_lshrrev_b64 v[4:5], 1, v[4:5]
	v_fma_f64 v[0:1], v[7:8], s[2:3], v[0:1]
	v_mul_f64 v[7:8], v[0:1], v[7:8]
	v_add_f64 v[7:8], v[7:8], v[7:8]
	v_ldexp_f64 v[9:10], v[7:8], s11
	v_cvt_i32_f64_e32 v9, v[9:10]
	v_cvt_f64_i32_e32 v[9:10], v9
	v_fma_f64 v[7:8], v[9:10], s[2:3], v[7:8]
	v_ldexp_f64 v[7:8], v[7:8], 23
	v_fma_f64 v[0:1], v[0:1], v[0:1], v[7:8]
	v_ldexp_f64 v[7:8], v[0:1], s22
	v_cvt_i32_f64_e32 v7, v[7:8]
	v_cvt_f64_i32_e32 v[7:8], v7
	v_fma_f64 v[0:1], v[7:8], s[14:15], v[0:1]
	s_branch .LBB0_6
.LBB0_11:
	s_or_b64 exec, exec, s[12:13]
.LBB0_12:
	s_or_b64 exec, exec, s[6:7]
	s_movk_i32 s6, 0xffe9
	v_ldexp_f64 v[4:5], v[0:1], s6
	v_ldexp_f64 v[7:8], v[2:3], s6
	s_mov_b32 s2, 0
	s_mov_b32 s3, 0xc1600000
	v_cvt_i32_f64_e32 v4, v[4:5]
	v_cvt_i32_f64_e32 v7, v[7:8]
	v_cvt_f64_i32_e32 v[4:5], v4
	v_cvt_f64_i32_e32 v[7:8], v7
	v_fma_f64 v[0:1], v[4:5], s[2:3], v[0:1]
	v_fma_f64 v[2:3], v[7:8], s[2:3], v[2:3]
	v_mul_f64 v[7:8], v[0:1], v[7:8]
	v_fma_f64 v[4:5], v[2:3], v[4:5], v[7:8]
	v_ldexp_f64 v[7:8], v[4:5], s6
	v_cvt_i32_f64_e32 v7, v[7:8]
	v_cvt_f64_i32_e32 v[7:8], v7
	v_fma_f64 v[4:5], v[7:8], s[2:3], v[4:5]
	s_movk_i32 s2, 0xffd2
	v_ldexp_f64 v[4:5], v[4:5], 23
	v_fma_f64 v[0:1], v[2:3], v[0:1], v[4:5]
	v_ldexp_f64 v[2:3], v[0:1], s2
	s_mov_b32 s2, 0
	s_mov_b32 s3, 0xc2d00000
	v_cvt_i32_f64_e32 v2, v[2:3]
	v_cvt_f64_i32_e32 v[2:3], v2
	v_fma_f64 v[8:9], v[2:3], s[2:3], v[0:1]
.LBB0_13:
	s_or_b64 exec, exec, s[4:5]
	s_ashr_i32 s2, s20, 31
	s_ashr_i32 s3, s10, 31
	s_xor_b32 s2, s2, s3
	s_mul_i32 s3, s21, s18
	s_sub_i32 s3, s19, s3
	s_add_i32 s4, s21, 1
	s_sub_i32 s5, s3, s18
	s_cmp_ge_u32 s3, s18
	s_cselect_b32 s4, s4, s21
	s_cselect_b32 s3, s5, s3
	s_add_i32 s5, s4, 1
	s_cmp_ge_u32 s3, s18
	s_cselect_b32 s3, s5, s4
	s_xor_b32 s3, s3, s2
	s_sub_i32 s2, s3, s2
	v_mul_lo_u32 v0, v6, s2
	v_add_u32_e32 v1, s2, v0
	v_min_i32_e32 v10, 0x10000, v1
	v_cmp_lt_i32_e32 vcc, v0, v10
	s_and_saveexec_b64 s[2:3], vcc
	s_cbranch_execz .LBB0_16
; %bb.14:
	v_not_b32_e32 v1, 22
	v_ldexp_f64 v[1:2], s[8:9], v1
	s_mov_b32 s2, 0
	v_mov_b32_e32 v4, s8
	s_mov_b32 s3, 0xc1600000
	v_mov_b32_e32 v5, s9
	v_mov_b32_e32 v11, s1
	s_mov_b32 s4, 0
	s_mov_b32 s6, 0
	v_cvt_i32_f64_e32 v1, v[1:2]
	s_movk_i32 s10, 0xffe9
	s_mov_b32 s5, 0xc2d00000
	s_mov_b32 s7, 0x3d100000
	v_cvt_f64_i32_e32 v[2:3], v1
	v_ashrrev_i32_e32 v1, 31, v0
	v_lshlrev_b64 v[6:7], 2, v[0:1]
	s_movk_i32 s8, 0xffd2
	v_fma_f64 v[4:5], v[2:3], s[2:3], v[4:5]
	v_add_co_u32_e32 v6, vcc, s0, v6
	v_addc_co_u32_e32 v7, vcc, v11, v7, vcc
	s_mov_b64 s[0:1], 0
.LBB0_15:                               ; =>This Inner Loop Header: Depth=1
	v_ldexp_f64 v[11:12], v[8:9], s10
	v_add_u32_e32 v0, 1, v0
	v_cmp_ge_i32_e32 vcc, v0, v10
	s_or_b64 s[0:1], vcc, s[0:1]
	v_cvt_i32_f64_e32 v1, v[11:12]
	v_cvt_f64_i32_e32 v[11:12], v1
	v_fma_f64 v[8:9], v[11:12], s[2:3], v[8:9]
	v_mul_f64 v[13:14], v[8:9], v[2:3]
	v_fma_f64 v[11:12], v[4:5], v[11:12], v[13:14]
	v_ldexp_f64 v[13:14], v[11:12], s10
	v_cvt_i32_f64_e32 v1, v[13:14]
	v_cvt_f64_i32_e32 v[13:14], v1
	v_fma_f64 v[11:12], v[13:14], s[2:3], v[11:12]
	v_ldexp_f64 v[11:12], v[11:12], 23
	v_fma_f64 v[8:9], v[4:5], v[8:9], v[11:12]
	v_ldexp_f64 v[11:12], v[8:9], s8
	v_cvt_i32_f64_e32 v1, v[11:12]
	v_cvt_f64_i32_e32 v[11:12], v1
	v_fma_f64 v[8:9], v[11:12], s[4:5], v[8:9]
	v_ldexp_f64 v[11:12], v[8:9], s10
	v_cvt_i32_f64_e32 v1, v[11:12]
	v_cvt_f64_i32_e32 v[11:12], v1
	v_fma_f64 v[13:14], v[11:12], s[2:3], v[8:9]
	v_mul_f64 v[15:16], v[13:14], v[2:3]
	v_fma_f64 v[11:12], v[4:5], v[11:12], v[15:16]
	v_ldexp_f64 v[15:16], v[11:12], s10
	v_cvt_i32_f64_e32 v1, v[15:16]
	v_cvt_f64_i32_e32 v[15:16], v1
	v_fma_f64 v[11:12], v[15:16], s[2:3], v[11:12]
	v_ldexp_f64 v[11:12], v[11:12], 23
	v_fma_f64 v[11:12], v[4:5], v[13:14], v[11:12]
	v_ldexp_f64 v[13:14], v[11:12], s8
	v_cvt_i32_f64_e32 v1, v[13:14]
	v_cvt_f64_i32_e32 v[13:14], v1
	v_fma_f64 v[11:12], v[13:14], s[4:5], v[11:12]
	v_ldexp_f64 v[13:14], v[11:12], s10
	v_cvt_i32_f64_e32 v1, v[13:14]
	v_cvt_f64_i32_e32 v[13:14], v1
	v_fma_f64 v[15:16], v[13:14], s[2:3], v[11:12]
	v_ldexp_f64 v[11:12], v[11:12], s8
	v_mul_f64 v[17:18], v[15:16], v[2:3]
	v_fma_f64 v[8:9], v[8:9], s[6:7], v[11:12]
	v_fma_f64 v[13:14], v[4:5], v[13:14], v[17:18]
	v_ldexp_f64 v[17:18], v[13:14], s10
	v_cvt_i32_f64_e32 v1, v[17:18]
	v_cvt_f64_i32_e32 v[17:18], v1
	v_fma_f64 v[13:14], v[17:18], s[2:3], v[13:14]
	v_ldexp_f64 v[13:14], v[13:14], 23
	v_fma_f64 v[13:14], v[4:5], v[15:16], v[13:14]
	v_ldexp_f64 v[15:16], v[13:14], s8
	v_cvt_i32_f64_e32 v1, v[15:16]
	v_cvt_f64_i32_e32 v[15:16], v1
	v_fma_f64 v[13:14], v[15:16], s[4:5], v[13:14]
	v_ldexp_f64 v[15:16], v[13:14], s10
	v_fma_f64 v[11:12], v[13:14], s[6:7], v[8:9]
	v_cvt_i32_f64_e32 v1, v[15:16]
	v_cvt_f64_i32_e32 v[15:16], v1
	v_fma_f64 v[17:18], v[15:16], s[2:3], v[13:14]
	v_mul_f64 v[19:20], v[17:18], v[2:3]
	v_fma_f64 v[15:16], v[4:5], v[15:16], v[19:20]
	v_ldexp_f64 v[19:20], v[15:16], s10
	v_cvt_i32_f64_e32 v1, v[19:20]
	v_cvt_f64_i32_e32 v[19:20], v1
	v_fma_f64 v[15:16], v[19:20], s[2:3], v[15:16]
	v_ldexp_f64 v[15:16], v[15:16], 23
	v_fma_f64 v[15:16], v[4:5], v[17:18], v[15:16]
	v_ldexp_f64 v[17:18], v[15:16], s8
	v_cvt_i32_f64_e32 v1, v[17:18]
	v_cvt_f64_i32_e32 v[8:9], v1
	v_fma_f64 v[8:9], v[8:9], s[4:5], v[15:16]
	v_fma_f64 v[11:12], v[8:9], s[6:7], v[11:12]
	v_ldexp_f64 v[11:12], v[11:12], 9
	v_cvt_i32_f64_e32 v1, v[11:12]
	global_store_dword v[6:7], v1, off
	v_add_co_u32_e32 v6, vcc, 4, v6
	v_addc_co_u32_e32 v7, vcc, 0, v7, vcc
	s_andn2_b64 exec, exec, s[0:1]
	s_cbranch_execnz .LBB0_15
.LBB0_16:
	s_endpgm
.LBB0_17:
                                        ; implicit-def: $sgpr12_sgpr13
	s_branch .LBB0_3
	.section	.rodata,"a",@progbits
	.p2align	6, 0x0
	.amdhsa_kernel _Z21create_seq_gpu_kernelPiddii
		.amdhsa_group_segment_fixed_size 0
		.amdhsa_private_segment_fixed_size 0
		.amdhsa_kernarg_size 288
		.amdhsa_user_sgpr_count 6
		.amdhsa_user_sgpr_private_segment_buffer 1
		.amdhsa_user_sgpr_dispatch_ptr 0
		.amdhsa_user_sgpr_queue_ptr 0
		.amdhsa_user_sgpr_kernarg_segment_ptr 1
		.amdhsa_user_sgpr_dispatch_id 0
		.amdhsa_user_sgpr_flat_scratch_init 0
		.amdhsa_user_sgpr_private_segment_size 0
		.amdhsa_uses_dynamic_stack 0
		.amdhsa_system_sgpr_private_segment_wavefront_offset 0
		.amdhsa_system_sgpr_workgroup_id_x 1
		.amdhsa_system_sgpr_workgroup_id_y 0
		.amdhsa_system_sgpr_workgroup_id_z 0
		.amdhsa_system_sgpr_workgroup_info 0
		.amdhsa_system_vgpr_workitem_id 0
		.amdhsa_next_free_vgpr 21
		.amdhsa_next_free_sgpr 35
		.amdhsa_reserve_vcc 1
		.amdhsa_reserve_flat_scratch 0
		.amdhsa_float_round_mode_32 0
		.amdhsa_float_round_mode_16_64 0
		.amdhsa_float_denorm_mode_32 3
		.amdhsa_float_denorm_mode_16_64 3
		.amdhsa_dx10_clamp 1
		.amdhsa_ieee_mode 1
		.amdhsa_fp16_overflow 0
		.amdhsa_exception_fp_ieee_invalid_op 0
		.amdhsa_exception_fp_denorm_src 0
		.amdhsa_exception_fp_ieee_div_zero 0
		.amdhsa_exception_fp_ieee_overflow 0
		.amdhsa_exception_fp_ieee_underflow 0
		.amdhsa_exception_fp_ieee_inexact 0
		.amdhsa_exception_int_div_zero 0
	.end_amdhsa_kernel
	.text
.Lfunc_end0:
	.size	_Z21create_seq_gpu_kernelPiddii, .Lfunc_end0-_Z21create_seq_gpu_kernelPiddii
                                        ; -- End function
	.set _Z21create_seq_gpu_kernelPiddii.num_vgpr, 21
	.set _Z21create_seq_gpu_kernelPiddii.num_agpr, 0
	.set _Z21create_seq_gpu_kernelPiddii.numbered_sgpr, 35
	.set _Z21create_seq_gpu_kernelPiddii.num_named_barrier, 0
	.set _Z21create_seq_gpu_kernelPiddii.private_seg_size, 0
	.set _Z21create_seq_gpu_kernelPiddii.uses_vcc, 1
	.set _Z21create_seq_gpu_kernelPiddii.uses_flat_scratch, 0
	.set _Z21create_seq_gpu_kernelPiddii.has_dyn_sized_stack, 0
	.set _Z21create_seq_gpu_kernelPiddii.has_recursion, 0
	.set _Z21create_seq_gpu_kernelPiddii.has_indirect_call, 0
	.section	.AMDGPU.csdata,"",@progbits
; Kernel info:
; codeLenInByte = 2092
; TotalNumSgprs: 39
; NumVgprs: 21
; ScratchSize: 0
; MemoryBound: 0
; FloatMode: 240
; IeeeMode: 1
; LDSByteSize: 0 bytes/workgroup (compile time only)
; SGPRBlocks: 4
; VGPRBlocks: 5
; NumSGPRsForWavesPerEU: 39
; NumVGPRsForWavesPerEU: 21
; Occupancy: 10
; WaveLimiterHint : 0
; COMPUTE_PGM_RSRC2:SCRATCH_EN: 0
; COMPUTE_PGM_RSRC2:USER_SGPR: 6
; COMPUTE_PGM_RSRC2:TRAP_HANDLER: 0
; COMPUTE_PGM_RSRC2:TGID_X_EN: 1
; COMPUTE_PGM_RSRC2:TGID_Y_EN: 0
; COMPUTE_PGM_RSRC2:TGID_Z_EN: 0
; COMPUTE_PGM_RSRC2:TIDIG_COMP_CNT: 0
	.text
	.protected	_Z24full_verify_gpu_kernel_1PKiPiii ; -- Begin function _Z24full_verify_gpu_kernel_1PKiPiii
	.globl	_Z24full_verify_gpu_kernel_1PKiPiii
	.p2align	8
	.type	_Z24full_verify_gpu_kernel_1PKiPiii,@function
_Z24full_verify_gpu_kernel_1PKiPiii:    ; @_Z24full_verify_gpu_kernel_1PKiPiii
; %bb.0:
	s_load_dword s7, s[4:5], 0x24
	s_load_dwordx4 s[0:3], s[4:5], 0x0
	s_waitcnt lgkmcnt(0)
	s_and_b32 s4, s7, 0xffff
	s_mul_i32 s6, s6, s4
	v_add_u32_e32 v0, s6, v0
	v_ashrrev_i32_e32 v1, 31, v0
	v_lshlrev_b64 v[0:1], 2, v[0:1]
	v_mov_b32_e32 v3, s1
	v_add_co_u32_e32 v2, vcc, s0, v0
	v_addc_co_u32_e32 v3, vcc, v3, v1, vcc
	global_load_dword v2, v[2:3], off
	v_mov_b32_e32 v3, s3
	v_add_co_u32_e32 v0, vcc, s2, v0
	v_addc_co_u32_e32 v1, vcc, v3, v1, vcc
	s_waitcnt vmcnt(0)
	global_store_dword v[0:1], v2, off
	s_endpgm
	.section	.rodata,"a",@progbits
	.p2align	6, 0x0
	.amdhsa_kernel _Z24full_verify_gpu_kernel_1PKiPiii
		.amdhsa_group_segment_fixed_size 0
		.amdhsa_private_segment_fixed_size 0
		.amdhsa_kernarg_size 280
		.amdhsa_user_sgpr_count 6
		.amdhsa_user_sgpr_private_segment_buffer 1
		.amdhsa_user_sgpr_dispatch_ptr 0
		.amdhsa_user_sgpr_queue_ptr 0
		.amdhsa_user_sgpr_kernarg_segment_ptr 1
		.amdhsa_user_sgpr_dispatch_id 0
		.amdhsa_user_sgpr_flat_scratch_init 0
		.amdhsa_user_sgpr_private_segment_size 0
		.amdhsa_uses_dynamic_stack 0
		.amdhsa_system_sgpr_private_segment_wavefront_offset 0
		.amdhsa_system_sgpr_workgroup_id_x 1
		.amdhsa_system_sgpr_workgroup_id_y 0
		.amdhsa_system_sgpr_workgroup_id_z 0
		.amdhsa_system_sgpr_workgroup_info 0
		.amdhsa_system_vgpr_workitem_id 0
		.amdhsa_next_free_vgpr 4
		.amdhsa_next_free_sgpr 8
		.amdhsa_reserve_vcc 1
		.amdhsa_reserve_flat_scratch 0
		.amdhsa_float_round_mode_32 0
		.amdhsa_float_round_mode_16_64 0
		.amdhsa_float_denorm_mode_32 3
		.amdhsa_float_denorm_mode_16_64 3
		.amdhsa_dx10_clamp 1
		.amdhsa_ieee_mode 1
		.amdhsa_fp16_overflow 0
		.amdhsa_exception_fp_ieee_invalid_op 0
		.amdhsa_exception_fp_denorm_src 0
		.amdhsa_exception_fp_ieee_div_zero 0
		.amdhsa_exception_fp_ieee_overflow 0
		.amdhsa_exception_fp_ieee_underflow 0
		.amdhsa_exception_fp_ieee_inexact 0
		.amdhsa_exception_int_div_zero 0
	.end_amdhsa_kernel
	.text
.Lfunc_end1:
	.size	_Z24full_verify_gpu_kernel_1PKiPiii, .Lfunc_end1-_Z24full_verify_gpu_kernel_1PKiPiii
                                        ; -- End function
	.set _Z24full_verify_gpu_kernel_1PKiPiii.num_vgpr, 4
	.set _Z24full_verify_gpu_kernel_1PKiPiii.num_agpr, 0
	.set _Z24full_verify_gpu_kernel_1PKiPiii.numbered_sgpr, 8
	.set _Z24full_verify_gpu_kernel_1PKiPiii.num_named_barrier, 0
	.set _Z24full_verify_gpu_kernel_1PKiPiii.private_seg_size, 0
	.set _Z24full_verify_gpu_kernel_1PKiPiii.uses_vcc, 1
	.set _Z24full_verify_gpu_kernel_1PKiPiii.uses_flat_scratch, 0
	.set _Z24full_verify_gpu_kernel_1PKiPiii.has_dyn_sized_stack, 0
	.set _Z24full_verify_gpu_kernel_1PKiPiii.has_recursion, 0
	.set _Z24full_verify_gpu_kernel_1PKiPiii.has_indirect_call, 0
	.section	.AMDGPU.csdata,"",@progbits
; Kernel info:
; codeLenInByte = 96
; TotalNumSgprs: 12
; NumVgprs: 4
; ScratchSize: 0
; MemoryBound: 0
; FloatMode: 240
; IeeeMode: 1
; LDSByteSize: 0 bytes/workgroup (compile time only)
; SGPRBlocks: 1
; VGPRBlocks: 0
; NumSGPRsForWavesPerEU: 12
; NumVGPRsForWavesPerEU: 4
; Occupancy: 10
; WaveLimiterHint : 0
; COMPUTE_PGM_RSRC2:SCRATCH_EN: 0
; COMPUTE_PGM_RSRC2:USER_SGPR: 6
; COMPUTE_PGM_RSRC2:TRAP_HANDLER: 0
; COMPUTE_PGM_RSRC2:TGID_X_EN: 1
; COMPUTE_PGM_RSRC2:TGID_Y_EN: 0
; COMPUTE_PGM_RSRC2:TGID_Z_EN: 0
; COMPUTE_PGM_RSRC2:TIDIG_COMP_CNT: 0
	.text
	.protected	_Z24full_verify_gpu_kernel_2PKiPiS1_ii ; -- Begin function _Z24full_verify_gpu_kernel_2PKiPiS1_ii
	.globl	_Z24full_verify_gpu_kernel_2PKiPiS1_ii
	.p2align	8
	.type	_Z24full_verify_gpu_kernel_2PKiPiS1_ii,@function
_Z24full_verify_gpu_kernel_2PKiPiS1_ii: ; @_Z24full_verify_gpu_kernel_2PKiPiS1_ii
; %bb.0:
	s_load_dword s7, s[4:5], 0x2c
	s_load_dwordx4 s[0:3], s[4:5], 0x0
	s_load_dwordx2 s[8:9], s[4:5], 0x10
	v_mov_b32_e32 v1, 0
	v_mov_b32_e32 v3, -1
	s_waitcnt lgkmcnt(0)
	s_and_b32 s4, s7, 0xffff
	s_mul_i32 s6, s6, s4
	v_add_u32_e32 v0, s6, v0
	v_lshlrev_b64 v[0:1], 2, v[0:1]
	v_mov_b32_e32 v2, s1
	v_add_co_u32_e32 v0, vcc, s0, v0
	v_addc_co_u32_e32 v1, vcc, v2, v1, vcc
	global_load_dword v0, v[0:1], off
	v_mov_b32_e32 v4, s3
	s_waitcnt vmcnt(0)
	v_ashrrev_i32_e32 v1, 31, v0
	v_lshlrev_b64 v[1:2], 2, v[0:1]
	v_add_co_u32_e32 v1, vcc, s2, v1
	v_addc_co_u32_e32 v2, vcc, v4, v2, vcc
	global_atomic_add v1, v[1:2], v3, off glc
	v_mov_b32_e32 v3, s9
	s_waitcnt vmcnt(0)
	v_ashrrev_i32_e32 v2, 31, v1
	v_lshlrev_b64 v[1:2], 2, v[1:2]
	v_add_co_u32_e32 v1, vcc, s8, v1
	v_addc_co_u32_e32 v2, vcc, v3, v2, vcc
	global_store_dword v[1:2], v0, off offset:-4
	s_endpgm
	.section	.rodata,"a",@progbits
	.p2align	6, 0x0
	.amdhsa_kernel _Z24full_verify_gpu_kernel_2PKiPiS1_ii
		.amdhsa_group_segment_fixed_size 0
		.amdhsa_private_segment_fixed_size 0
		.amdhsa_kernarg_size 288
		.amdhsa_user_sgpr_count 6
		.amdhsa_user_sgpr_private_segment_buffer 1
		.amdhsa_user_sgpr_dispatch_ptr 0
		.amdhsa_user_sgpr_queue_ptr 0
		.amdhsa_user_sgpr_kernarg_segment_ptr 1
		.amdhsa_user_sgpr_dispatch_id 0
		.amdhsa_user_sgpr_flat_scratch_init 0
		.amdhsa_user_sgpr_private_segment_size 0
		.amdhsa_uses_dynamic_stack 0
		.amdhsa_system_sgpr_private_segment_wavefront_offset 0
		.amdhsa_system_sgpr_workgroup_id_x 1
		.amdhsa_system_sgpr_workgroup_id_y 0
		.amdhsa_system_sgpr_workgroup_id_z 0
		.amdhsa_system_sgpr_workgroup_info 0
		.amdhsa_system_vgpr_workitem_id 0
		.amdhsa_next_free_vgpr 5
		.amdhsa_next_free_sgpr 10
		.amdhsa_reserve_vcc 1
		.amdhsa_reserve_flat_scratch 0
		.amdhsa_float_round_mode_32 0
		.amdhsa_float_round_mode_16_64 0
		.amdhsa_float_denorm_mode_32 3
		.amdhsa_float_denorm_mode_16_64 3
		.amdhsa_dx10_clamp 1
		.amdhsa_ieee_mode 1
		.amdhsa_fp16_overflow 0
		.amdhsa_exception_fp_ieee_invalid_op 0
		.amdhsa_exception_fp_denorm_src 0
		.amdhsa_exception_fp_ieee_div_zero 0
		.amdhsa_exception_fp_ieee_overflow 0
		.amdhsa_exception_fp_ieee_underflow 0
		.amdhsa_exception_fp_ieee_inexact 0
		.amdhsa_exception_int_div_zero 0
	.end_amdhsa_kernel
	.text
.Lfunc_end2:
	.size	_Z24full_verify_gpu_kernel_2PKiPiS1_ii, .Lfunc_end2-_Z24full_verify_gpu_kernel_2PKiPiS1_ii
                                        ; -- End function
	.set _Z24full_verify_gpu_kernel_2PKiPiS1_ii.num_vgpr, 5
	.set _Z24full_verify_gpu_kernel_2PKiPiS1_ii.num_agpr, 0
	.set _Z24full_verify_gpu_kernel_2PKiPiS1_ii.numbered_sgpr, 10
	.set _Z24full_verify_gpu_kernel_2PKiPiS1_ii.num_named_barrier, 0
	.set _Z24full_verify_gpu_kernel_2PKiPiS1_ii.private_seg_size, 0
	.set _Z24full_verify_gpu_kernel_2PKiPiS1_ii.uses_vcc, 1
	.set _Z24full_verify_gpu_kernel_2PKiPiS1_ii.uses_flat_scratch, 0
	.set _Z24full_verify_gpu_kernel_2PKiPiS1_ii.has_dyn_sized_stack, 0
	.set _Z24full_verify_gpu_kernel_2PKiPiS1_ii.has_recursion, 0
	.set _Z24full_verify_gpu_kernel_2PKiPiS1_ii.has_indirect_call, 0
	.section	.AMDGPU.csdata,"",@progbits
; Kernel info:
; codeLenInByte = 156
; TotalNumSgprs: 14
; NumVgprs: 5
; ScratchSize: 0
; MemoryBound: 0
; FloatMode: 240
; IeeeMode: 1
; LDSByteSize: 0 bytes/workgroup (compile time only)
; SGPRBlocks: 1
; VGPRBlocks: 1
; NumSGPRsForWavesPerEU: 14
; NumVGPRsForWavesPerEU: 5
; Occupancy: 10
; WaveLimiterHint : 1
; COMPUTE_PGM_RSRC2:SCRATCH_EN: 0
; COMPUTE_PGM_RSRC2:USER_SGPR: 6
; COMPUTE_PGM_RSRC2:TRAP_HANDLER: 0
; COMPUTE_PGM_RSRC2:TGID_X_EN: 1
; COMPUTE_PGM_RSRC2:TGID_Y_EN: 0
; COMPUTE_PGM_RSRC2:TGID_Z_EN: 0
; COMPUTE_PGM_RSRC2:TIDIG_COMP_CNT: 0
	.text
	.protected	_Z24full_verify_gpu_kernel_3PKiPiii ; -- Begin function _Z24full_verify_gpu_kernel_3PKiPiii
	.globl	_Z24full_verify_gpu_kernel_3PKiPiii
	.p2align	8
	.type	_Z24full_verify_gpu_kernel_3PKiPiii,@function
_Z24full_verify_gpu_kernel_3PKiPiii:    ; @_Z24full_verify_gpu_kernel_3PKiPiii
; %bb.0:
	s_load_dword s0, s[4:5], 0x24
	s_mov_b32 s1, 0xffff
	v_lshl_add_u32 v3, v0, 2, 0
	s_waitcnt lgkmcnt(0)
	s_and_b32 s7, s0, 0xffff
	s_mul_i32 s0, s6, s7
	v_add_u32_e32 v1, s0, v0
	v_add_u32_e32 v2, 1, v1
	v_cmp_lt_i32_e32 vcc, s1, v2
	s_and_saveexec_b64 s[0:1], vcc
	s_xor_b64 s[0:1], exec, s[0:1]
; %bb.1:
	v_mov_b32_e32 v1, 0
	ds_write_b32 v3, v1
                                        ; implicit-def: $vgpr1
; %bb.2:
	s_andn2_saveexec_b64 s[0:1], s[0:1]
	s_cbranch_execz .LBB3_8
; %bb.3:
	s_load_dwordx2 s[2:3], s[4:5], 0x0
	v_ashrrev_i32_e32 v2, 31, v1
	v_lshlrev_b64 v[1:2], 2, v[1:2]
	s_waitcnt lgkmcnt(0)
	v_mov_b32_e32 v4, s3
	v_add_co_u32_e32 v1, vcc, s2, v1
	v_addc_co_u32_e32 v2, vcc, v4, v2, vcc
	global_load_dwordx2 v[1:2], v[1:2], off
	s_waitcnt vmcnt(0)
	v_cmp_le_i32_e32 vcc, v1, v2
	s_and_saveexec_b64 s[2:3], vcc
	s_xor_b64 s[2:3], exec, s[2:3]
; %bb.4:
	v_mov_b32_e32 v1, 0
	ds_write_b32 v3, v1
; %bb.5:
	s_andn2_saveexec_b64 s[2:3], s[2:3]
; %bb.6:
	v_mov_b32_e32 v1, 1
	ds_write_b32 v3, v1
; %bb.7:
	s_or_b64 exec, exec, s[2:3]
.LBB3_8:
	s_or_b64 exec, exec, s[0:1]
	s_cmp_lt_u32 s7, 2
	s_waitcnt lgkmcnt(0)
	s_barrier
	s_cbranch_scc0 .LBB3_13
.LBB3_9:
	s_mov_b32 s7, 0
	v_cmp_eq_u32_e32 vcc, 0, v0
	s_and_saveexec_b64 s[0:1], vcc
	s_cbranch_execz .LBB3_11
; %bb.10:
	s_load_dwordx2 s[0:1], s[4:5], 0x8
	v_mov_b32_e32 v0, 0
	ds_read_b32 v1, v0
	s_lshl_b64 s[2:3], s[6:7], 2
	s_waitcnt lgkmcnt(0)
	s_add_u32 s0, s0, s2
	s_addc_u32 s1, s1, s3
	global_store_dword v0, v1, s[0:1]
.LBB3_11:
	s_endpgm
.LBB3_12:                               ;   in Loop: Header=BB3_13 Depth=1
	s_or_b64 exec, exec, s[0:1]
	s_cmp_gt_u32 s7, 3
	s_mov_b32 s7, s2
	s_waitcnt lgkmcnt(0)
	s_barrier
	s_cbranch_scc0 .LBB3_9
.LBB3_13:                               ; =>This Inner Loop Header: Depth=1
	s_lshr_b32 s2, s7, 1
	v_cmp_gt_u32_e32 vcc, s2, v0
	s_and_saveexec_b64 s[0:1], vcc
	s_cbranch_execz .LBB3_12
; %bb.14:                               ;   in Loop: Header=BB3_13 Depth=1
	v_lshl_add_u32 v1, s2, 2, v3
	ds_read_b32 v1, v1
	ds_read_b32 v2, v3
	s_waitcnt lgkmcnt(0)
	v_add_u32_e32 v1, v2, v1
	ds_write_b32 v3, v1
	s_branch .LBB3_12
	.section	.rodata,"a",@progbits
	.p2align	6, 0x0
	.amdhsa_kernel _Z24full_verify_gpu_kernel_3PKiPiii
		.amdhsa_group_segment_fixed_size 0
		.amdhsa_private_segment_fixed_size 0
		.amdhsa_kernarg_size 280
		.amdhsa_user_sgpr_count 6
		.amdhsa_user_sgpr_private_segment_buffer 1
		.amdhsa_user_sgpr_dispatch_ptr 0
		.amdhsa_user_sgpr_queue_ptr 0
		.amdhsa_user_sgpr_kernarg_segment_ptr 1
		.amdhsa_user_sgpr_dispatch_id 0
		.amdhsa_user_sgpr_flat_scratch_init 0
		.amdhsa_user_sgpr_private_segment_size 0
		.amdhsa_uses_dynamic_stack 0
		.amdhsa_system_sgpr_private_segment_wavefront_offset 0
		.amdhsa_system_sgpr_workgroup_id_x 1
		.amdhsa_system_sgpr_workgroup_id_y 0
		.amdhsa_system_sgpr_workgroup_id_z 0
		.amdhsa_system_sgpr_workgroup_info 0
		.amdhsa_system_vgpr_workitem_id 0
		.amdhsa_next_free_vgpr 5
		.amdhsa_next_free_sgpr 8
		.amdhsa_reserve_vcc 1
		.amdhsa_reserve_flat_scratch 0
		.amdhsa_float_round_mode_32 0
		.amdhsa_float_round_mode_16_64 0
		.amdhsa_float_denorm_mode_32 3
		.amdhsa_float_denorm_mode_16_64 3
		.amdhsa_dx10_clamp 1
		.amdhsa_ieee_mode 1
		.amdhsa_fp16_overflow 0
		.amdhsa_exception_fp_ieee_invalid_op 0
		.amdhsa_exception_fp_denorm_src 0
		.amdhsa_exception_fp_ieee_div_zero 0
		.amdhsa_exception_fp_ieee_overflow 0
		.amdhsa_exception_fp_ieee_underflow 0
		.amdhsa_exception_fp_ieee_inexact 0
		.amdhsa_exception_int_div_zero 0
	.end_amdhsa_kernel
	.text
.Lfunc_end3:
	.size	_Z24full_verify_gpu_kernel_3PKiPiii, .Lfunc_end3-_Z24full_verify_gpu_kernel_3PKiPiii
                                        ; -- End function
	.set _Z24full_verify_gpu_kernel_3PKiPiii.num_vgpr, 5
	.set _Z24full_verify_gpu_kernel_3PKiPiii.num_agpr, 0
	.set _Z24full_verify_gpu_kernel_3PKiPiii.numbered_sgpr, 8
	.set _Z24full_verify_gpu_kernel_3PKiPiii.num_named_barrier, 0
	.set _Z24full_verify_gpu_kernel_3PKiPiii.private_seg_size, 0
	.set _Z24full_verify_gpu_kernel_3PKiPiii.uses_vcc, 1
	.set _Z24full_verify_gpu_kernel_3PKiPiii.uses_flat_scratch, 0
	.set _Z24full_verify_gpu_kernel_3PKiPiii.has_dyn_sized_stack, 0
	.set _Z24full_verify_gpu_kernel_3PKiPiii.has_recursion, 0
	.set _Z24full_verify_gpu_kernel_3PKiPiii.has_indirect_call, 0
	.section	.AMDGPU.csdata,"",@progbits
; Kernel info:
; codeLenInByte = 340
; TotalNumSgprs: 12
; NumVgprs: 5
; ScratchSize: 0
; MemoryBound: 0
; FloatMode: 240
; IeeeMode: 1
; LDSByteSize: 0 bytes/workgroup (compile time only)
; SGPRBlocks: 1
; VGPRBlocks: 1
; NumSGPRsForWavesPerEU: 12
; NumVGPRsForWavesPerEU: 5
; Occupancy: 10
; WaveLimiterHint : 0
; COMPUTE_PGM_RSRC2:SCRATCH_EN: 0
; COMPUTE_PGM_RSRC2:USER_SGPR: 6
; COMPUTE_PGM_RSRC2:TRAP_HANDLER: 0
; COMPUTE_PGM_RSRC2:TGID_X_EN: 1
; COMPUTE_PGM_RSRC2:TGID_Y_EN: 0
; COMPUTE_PGM_RSRC2:TGID_Z_EN: 0
; COMPUTE_PGM_RSRC2:TIDIG_COMP_CNT: 0
	.text
	.protected	_Z17rank_gpu_kernel_1PiS_PKiiii ; -- Begin function _Z17rank_gpu_kernel_1PiS_PKiiii
	.globl	_Z17rank_gpu_kernel_1PiS_PKiiii
	.p2align	8
	.type	_Z17rank_gpu_kernel_1PiS_PKiiii,@function
_Z17rank_gpu_kernel_1PiS_PKiiii:        ; @_Z17rank_gpu_kernel_1PiS_PKiiii
; %bb.0:
	s_load_dword s8, s[4:5], 0x18
	s_load_dwordx4 s[0:3], s[4:5], 0x0
	s_load_dwordx2 s[10:11], s[4:5], 0x10
	v_mov_b32_e32 v4, 0
	s_waitcnt lgkmcnt(0)
	s_ashr_i32 s9, s8, 31
	s_lshl_b64 s[4:5], s[8:9], 2
	s_add_u32 s12, s0, s4
	s_addc_u32 s13, s1, s5
	s_load_dwordx4 s[4:7], s[10:11], 0x0
	v_mov_b32_e32 v0, s8
	s_sub_i32 s8, 0x800, s8
	global_store_dword v4, v0, s[12:13]
	v_mov_b32_e32 v0, s8
	s_load_dword s8, s[10:11], 0x10
	s_waitcnt lgkmcnt(0)
	s_ashr_i32 s11, s4, 31
	s_mov_b32 s10, s4
	s_lshl_b64 s[10:11], s[10:11], 2
	s_add_u32 s10, s0, s10
	global_store_dword v4, v0, s[12:13] offset:96
	s_addc_u32 s11, s1, s11
	s_ashr_i32 s13, s5, 31
	s_mov_b32 s12, s5
	s_lshl_b64 s[4:5], s[12:13], 2
	s_add_u32 s4, s0, s4
	s_addc_u32 s5, s1, s5
	s_ashr_i32 s13, s6, 31
	s_mov_b32 s12, s6
	s_lshl_b64 s[12:13], s[12:13], 2
	s_add_u32 s12, s0, s12
	;; [unrolled: 5-line block ×3, first 2 shown]
	s_addc_u32 s7, s1, s7
	s_ashr_i32 s9, s8, 31
	s_lshl_b64 s[8:9], s[8:9], 2
	s_add_u32 s0, s0, s8
	s_addc_u32 s1, s1, s9
	global_load_dword v0, v4, s[10:11]
	global_load_dword v1, v4, s[4:5]
	;; [unrolled: 1-line block ×5, first 2 shown]
	s_waitcnt vmcnt(1)
	global_store_dwordx4 v4, v[0:3], s[2:3]
	s_waitcnt vmcnt(1)
	global_store_dword v4, v5, s[2:3] offset:16
	s_endpgm
	.section	.rodata,"a",@progbits
	.p2align	6, 0x0
	.amdhsa_kernel _Z17rank_gpu_kernel_1PiS_PKiiii
		.amdhsa_group_segment_fixed_size 0
		.amdhsa_private_segment_fixed_size 0
		.amdhsa_kernarg_size 36
		.amdhsa_user_sgpr_count 6
		.amdhsa_user_sgpr_private_segment_buffer 1
		.amdhsa_user_sgpr_dispatch_ptr 0
		.amdhsa_user_sgpr_queue_ptr 0
		.amdhsa_user_sgpr_kernarg_segment_ptr 1
		.amdhsa_user_sgpr_dispatch_id 0
		.amdhsa_user_sgpr_flat_scratch_init 0
		.amdhsa_user_sgpr_private_segment_size 0
		.amdhsa_uses_dynamic_stack 0
		.amdhsa_system_sgpr_private_segment_wavefront_offset 0
		.amdhsa_system_sgpr_workgroup_id_x 1
		.amdhsa_system_sgpr_workgroup_id_y 0
		.amdhsa_system_sgpr_workgroup_id_z 0
		.amdhsa_system_sgpr_workgroup_info 0
		.amdhsa_system_vgpr_workitem_id 0
		.amdhsa_next_free_vgpr 6
		.amdhsa_next_free_sgpr 16
		.amdhsa_reserve_vcc 0
		.amdhsa_reserve_flat_scratch 0
		.amdhsa_float_round_mode_32 0
		.amdhsa_float_round_mode_16_64 0
		.amdhsa_float_denorm_mode_32 3
		.amdhsa_float_denorm_mode_16_64 3
		.amdhsa_dx10_clamp 1
		.amdhsa_ieee_mode 1
		.amdhsa_fp16_overflow 0
		.amdhsa_exception_fp_ieee_invalid_op 0
		.amdhsa_exception_fp_denorm_src 0
		.amdhsa_exception_fp_ieee_div_zero 0
		.amdhsa_exception_fp_ieee_overflow 0
		.amdhsa_exception_fp_ieee_underflow 0
		.amdhsa_exception_fp_ieee_inexact 0
		.amdhsa_exception_int_div_zero 0
	.end_amdhsa_kernel
	.text
.Lfunc_end4:
	.size	_Z17rank_gpu_kernel_1PiS_PKiiii, .Lfunc_end4-_Z17rank_gpu_kernel_1PiS_PKiiii
                                        ; -- End function
	.set _Z17rank_gpu_kernel_1PiS_PKiiii.num_vgpr, 6
	.set _Z17rank_gpu_kernel_1PiS_PKiiii.num_agpr, 0
	.set _Z17rank_gpu_kernel_1PiS_PKiiii.numbered_sgpr, 16
	.set _Z17rank_gpu_kernel_1PiS_PKiiii.num_named_barrier, 0
	.set _Z17rank_gpu_kernel_1PiS_PKiiii.private_seg_size, 0
	.set _Z17rank_gpu_kernel_1PiS_PKiiii.uses_vcc, 0
	.set _Z17rank_gpu_kernel_1PiS_PKiiii.uses_flat_scratch, 0
	.set _Z17rank_gpu_kernel_1PiS_PKiiii.has_dyn_sized_stack, 0
	.set _Z17rank_gpu_kernel_1PiS_PKiiii.has_recursion, 0
	.set _Z17rank_gpu_kernel_1PiS_PKiiii.has_indirect_call, 0
	.section	.AMDGPU.csdata,"",@progbits
; Kernel info:
; codeLenInByte = 264
; TotalNumSgprs: 20
; NumVgprs: 6
; ScratchSize: 0
; MemoryBound: 0
; FloatMode: 240
; IeeeMode: 1
; LDSByteSize: 0 bytes/workgroup (compile time only)
; SGPRBlocks: 2
; VGPRBlocks: 1
; NumSGPRsForWavesPerEU: 20
; NumVGPRsForWavesPerEU: 6
; Occupancy: 10
; WaveLimiterHint : 1
; COMPUTE_PGM_RSRC2:SCRATCH_EN: 0
; COMPUTE_PGM_RSRC2:USER_SGPR: 6
; COMPUTE_PGM_RSRC2:TRAP_HANDLER: 0
; COMPUTE_PGM_RSRC2:TGID_X_EN: 1
; COMPUTE_PGM_RSRC2:TGID_Y_EN: 0
; COMPUTE_PGM_RSRC2:TGID_Z_EN: 0
; COMPUTE_PGM_RSRC2:TIDIG_COMP_CNT: 0
	.text
	.protected	_Z17rank_gpu_kernel_2Piii ; -- Begin function _Z17rank_gpu_kernel_2Piii
	.globl	_Z17rank_gpu_kernel_2Piii
	.p2align	8
	.type	_Z17rank_gpu_kernel_2Piii,@function
_Z17rank_gpu_kernel_2Piii:              ; @_Z17rank_gpu_kernel_2Piii
; %bb.0:
	s_load_dword s2, s[4:5], 0x1c
	s_load_dwordx2 s[0:1], s[4:5], 0x0
	v_mov_b32_e32 v1, 0
	s_waitcnt lgkmcnt(0)
	s_and_b32 s2, s2, 0xffff
	s_mul_i32 s6, s6, s2
	v_add_u32_e32 v0, s6, v0
	v_lshlrev_b64 v[2:3], 2, v[0:1]
	v_mov_b32_e32 v0, s1
	v_add_co_u32_e32 v2, vcc, s0, v2
	v_addc_co_u32_e32 v3, vcc, v0, v3, vcc
	global_store_dword v[2:3], v1, off
	s_endpgm
	.section	.rodata,"a",@progbits
	.p2align	6, 0x0
	.amdhsa_kernel _Z17rank_gpu_kernel_2Piii
		.amdhsa_group_segment_fixed_size 0
		.amdhsa_private_segment_fixed_size 0
		.amdhsa_kernarg_size 272
		.amdhsa_user_sgpr_count 6
		.amdhsa_user_sgpr_private_segment_buffer 1
		.amdhsa_user_sgpr_dispatch_ptr 0
		.amdhsa_user_sgpr_queue_ptr 0
		.amdhsa_user_sgpr_kernarg_segment_ptr 1
		.amdhsa_user_sgpr_dispatch_id 0
		.amdhsa_user_sgpr_flat_scratch_init 0
		.amdhsa_user_sgpr_private_segment_size 0
		.amdhsa_uses_dynamic_stack 0
		.amdhsa_system_sgpr_private_segment_wavefront_offset 0
		.amdhsa_system_sgpr_workgroup_id_x 1
		.amdhsa_system_sgpr_workgroup_id_y 0
		.amdhsa_system_sgpr_workgroup_id_z 0
		.amdhsa_system_sgpr_workgroup_info 0
		.amdhsa_system_vgpr_workitem_id 0
		.amdhsa_next_free_vgpr 4
		.amdhsa_next_free_sgpr 7
		.amdhsa_reserve_vcc 1
		.amdhsa_reserve_flat_scratch 0
		.amdhsa_float_round_mode_32 0
		.amdhsa_float_round_mode_16_64 0
		.amdhsa_float_denorm_mode_32 3
		.amdhsa_float_denorm_mode_16_64 3
		.amdhsa_dx10_clamp 1
		.amdhsa_ieee_mode 1
		.amdhsa_fp16_overflow 0
		.amdhsa_exception_fp_ieee_invalid_op 0
		.amdhsa_exception_fp_denorm_src 0
		.amdhsa_exception_fp_ieee_div_zero 0
		.amdhsa_exception_fp_ieee_overflow 0
		.amdhsa_exception_fp_ieee_underflow 0
		.amdhsa_exception_fp_ieee_inexact 0
		.amdhsa_exception_int_div_zero 0
	.end_amdhsa_kernel
	.text
.Lfunc_end5:
	.size	_Z17rank_gpu_kernel_2Piii, .Lfunc_end5-_Z17rank_gpu_kernel_2Piii
                                        ; -- End function
	.set _Z17rank_gpu_kernel_2Piii.num_vgpr, 4
	.set _Z17rank_gpu_kernel_2Piii.num_agpr, 0
	.set _Z17rank_gpu_kernel_2Piii.numbered_sgpr, 7
	.set _Z17rank_gpu_kernel_2Piii.num_named_barrier, 0
	.set _Z17rank_gpu_kernel_2Piii.private_seg_size, 0
	.set _Z17rank_gpu_kernel_2Piii.uses_vcc, 1
	.set _Z17rank_gpu_kernel_2Piii.uses_flat_scratch, 0
	.set _Z17rank_gpu_kernel_2Piii.has_dyn_sized_stack, 0
	.set _Z17rank_gpu_kernel_2Piii.has_recursion, 0
	.set _Z17rank_gpu_kernel_2Piii.has_indirect_call, 0
	.section	.AMDGPU.csdata,"",@progbits
; Kernel info:
; codeLenInByte = 72
; TotalNumSgprs: 11
; NumVgprs: 4
; ScratchSize: 0
; MemoryBound: 0
; FloatMode: 240
; IeeeMode: 1
; LDSByteSize: 0 bytes/workgroup (compile time only)
; SGPRBlocks: 1
; VGPRBlocks: 0
; NumSGPRsForWavesPerEU: 11
; NumVGPRsForWavesPerEU: 4
; Occupancy: 10
; WaveLimiterHint : 0
; COMPUTE_PGM_RSRC2:SCRATCH_EN: 0
; COMPUTE_PGM_RSRC2:USER_SGPR: 6
; COMPUTE_PGM_RSRC2:TRAP_HANDLER: 0
; COMPUTE_PGM_RSRC2:TGID_X_EN: 1
; COMPUTE_PGM_RSRC2:TGID_Y_EN: 0
; COMPUTE_PGM_RSRC2:TGID_Z_EN: 0
; COMPUTE_PGM_RSRC2:TIDIG_COMP_CNT: 0
	.text
	.protected	_Z17rank_gpu_kernel_3PiPKiii ; -- Begin function _Z17rank_gpu_kernel_3PiPKiii
	.globl	_Z17rank_gpu_kernel_3PiPKiii
	.p2align	8
	.type	_Z17rank_gpu_kernel_3PiPKiii,@function
_Z17rank_gpu_kernel_3PiPKiii:           ; @_Z17rank_gpu_kernel_3PiPKiii
; %bb.0:
	s_load_dword s7, s[4:5], 0x24
	s_load_dwordx4 s[0:3], s[4:5], 0x0
	v_mov_b32_e32 v1, 0
	s_waitcnt lgkmcnt(0)
	s_and_b32 s4, s7, 0xffff
	s_mul_i32 s6, s6, s4
	v_add_u32_e32 v0, s6, v0
	v_lshlrev_b64 v[0:1], 2, v[0:1]
	v_mov_b32_e32 v2, s3
	v_add_co_u32_e32 v0, vcc, s2, v0
	v_addc_co_u32_e32 v1, vcc, v2, v1, vcc
	global_load_dword v0, v[0:1], off
	v_mov_b32_e32 v2, s1
	s_waitcnt vmcnt(0)
	v_ashrrev_i32_e32 v1, 31, v0
	v_lshlrev_b64 v[0:1], 2, v[0:1]
	v_add_co_u32_e32 v0, vcc, s0, v0
	v_addc_co_u32_e32 v1, vcc, v2, v1, vcc
	v_mov_b32_e32 v2, 1
	global_atomic_add v[0:1], v2, off
	s_endpgm
	.section	.rodata,"a",@progbits
	.p2align	6, 0x0
	.amdhsa_kernel _Z17rank_gpu_kernel_3PiPKiii
		.amdhsa_group_segment_fixed_size 0
		.amdhsa_private_segment_fixed_size 0
		.amdhsa_kernarg_size 280
		.amdhsa_user_sgpr_count 6
		.amdhsa_user_sgpr_private_segment_buffer 1
		.amdhsa_user_sgpr_dispatch_ptr 0
		.amdhsa_user_sgpr_queue_ptr 0
		.amdhsa_user_sgpr_kernarg_segment_ptr 1
		.amdhsa_user_sgpr_dispatch_id 0
		.amdhsa_user_sgpr_flat_scratch_init 0
		.amdhsa_user_sgpr_private_segment_size 0
		.amdhsa_uses_dynamic_stack 0
		.amdhsa_system_sgpr_private_segment_wavefront_offset 0
		.amdhsa_system_sgpr_workgroup_id_x 1
		.amdhsa_system_sgpr_workgroup_id_y 0
		.amdhsa_system_sgpr_workgroup_id_z 0
		.amdhsa_system_sgpr_workgroup_info 0
		.amdhsa_system_vgpr_workitem_id 0
		.amdhsa_next_free_vgpr 3
		.amdhsa_next_free_sgpr 8
		.amdhsa_reserve_vcc 1
		.amdhsa_reserve_flat_scratch 0
		.amdhsa_float_round_mode_32 0
		.amdhsa_float_round_mode_16_64 0
		.amdhsa_float_denorm_mode_32 3
		.amdhsa_float_denorm_mode_16_64 3
		.amdhsa_dx10_clamp 1
		.amdhsa_ieee_mode 1
		.amdhsa_fp16_overflow 0
		.amdhsa_exception_fp_ieee_invalid_op 0
		.amdhsa_exception_fp_denorm_src 0
		.amdhsa_exception_fp_ieee_div_zero 0
		.amdhsa_exception_fp_ieee_overflow 0
		.amdhsa_exception_fp_ieee_underflow 0
		.amdhsa_exception_fp_ieee_inexact 0
		.amdhsa_exception_int_div_zero 0
	.end_amdhsa_kernel
	.text
.Lfunc_end6:
	.size	_Z17rank_gpu_kernel_3PiPKiii, .Lfunc_end6-_Z17rank_gpu_kernel_3PiPKiii
                                        ; -- End function
	.set _Z17rank_gpu_kernel_3PiPKiii.num_vgpr, 3
	.set _Z17rank_gpu_kernel_3PiPKiii.num_agpr, 0
	.set _Z17rank_gpu_kernel_3PiPKiii.numbered_sgpr, 8
	.set _Z17rank_gpu_kernel_3PiPKiii.num_named_barrier, 0
	.set _Z17rank_gpu_kernel_3PiPKiii.private_seg_size, 0
	.set _Z17rank_gpu_kernel_3PiPKiii.uses_vcc, 1
	.set _Z17rank_gpu_kernel_3PiPKiii.uses_flat_scratch, 0
	.set _Z17rank_gpu_kernel_3PiPKiii.has_dyn_sized_stack, 0
	.set _Z17rank_gpu_kernel_3PiPKiii.has_recursion, 0
	.set _Z17rank_gpu_kernel_3PiPKiii.has_indirect_call, 0
	.section	.AMDGPU.csdata,"",@progbits
; Kernel info:
; codeLenInByte = 112
; TotalNumSgprs: 12
; NumVgprs: 3
; ScratchSize: 0
; MemoryBound: 0
; FloatMode: 240
; IeeeMode: 1
; LDSByteSize: 0 bytes/workgroup (compile time only)
; SGPRBlocks: 1
; VGPRBlocks: 0
; NumSGPRsForWavesPerEU: 12
; NumVGPRsForWavesPerEU: 3
; Occupancy: 10
; WaveLimiterHint : 1
; COMPUTE_PGM_RSRC2:SCRATCH_EN: 0
; COMPUTE_PGM_RSRC2:USER_SGPR: 6
; COMPUTE_PGM_RSRC2:TRAP_HANDLER: 0
; COMPUTE_PGM_RSRC2:TGID_X_EN: 1
; COMPUTE_PGM_RSRC2:TGID_Y_EN: 0
; COMPUTE_PGM_RSRC2:TGID_Z_EN: 0
; COMPUTE_PGM_RSRC2:TIDIG_COMP_CNT: 0
	.text
	.protected	_Z17rank_gpu_kernel_4PKiPiS1_ii ; -- Begin function _Z17rank_gpu_kernel_4PKiPiS1_ii
	.globl	_Z17rank_gpu_kernel_4PKiPiS1_ii
	.p2align	8
	.type	_Z17rank_gpu_kernel_4PKiPiS1_ii,@function
_Z17rank_gpu_kernel_4PKiPiS1_ii:        ; @_Z17rank_gpu_kernel_4PKiPiS1_ii
; %bb.0:
	s_load_dword s0, s[4:5], 0x18
	s_load_dwordx2 s[2:3], s[4:5], 0x8
	v_mov_b32_e32 v2, 0
	s_waitcnt lgkmcnt(0)
	s_abs_i32 s1, s0
	v_cvt_f32_u32_e32 v1, s1
	s_sub_i32 s7, 0, s1
	s_ashr_i32 s0, s0, 31
	v_rcp_iflag_f32_e32 v1, v1
	v_mul_f32_e32 v1, 0x4f7ffffe, v1
	v_cvt_u32_f32_e32 v3, v1
	v_lshl_add_u32 v1, v0, 2, 0
	ds_write_b32 v1, v2
	v_readfirstlane_b32 s8, v3
	s_mul_i32 s7, s7, s8
	s_mul_hi_u32 s7, s8, s7
	s_add_i32 s8, s8, s7
	s_lshr_b32 s7, s8, 21
	s_mul_i32 s8, s7, s1
	s_sub_i32 s8, 0x800, s8
	s_add_i32 s9, s7, 1
	s_sub_i32 s10, s8, s1
	s_cmp_ge_u32 s8, s1
	s_cselect_b32 s7, s9, s7
	s_cselect_b32 s8, s10, s8
	s_add_i32 s9, s7, 1
	s_cmp_ge_u32 s8, s1
	s_cselect_b32 s1, s9, s7
	s_xor_b32 s1, s1, s0
	s_sub_i32 s0, s1, s0
	s_mul_i32 s7, s0, s6
	s_add_i32 s8, s7, s0
	s_cmp_lt_i32 s0, 1
	s_cbranch_scc1 .LBB7_8
; %bb.1:
	s_load_dword s0, s[4:5], 0x2c
	s_load_dwordx2 s[10:11], s[4:5], 0x0
	v_mov_b32_e32 v8, s3
	s_mov_b32 s12, s7
	s_waitcnt lgkmcnt(0)
	s_and_b32 s9, s0, 0xffff
	s_cmp_gt_u32 s9, 1
	s_cselect_b64 s[0:1], -1, 0
	v_lshl_add_u32 v7, s9, 2, v1
	v_cndmask_b32_e64 v1, 0, 1, s[0:1]
	v_mov_b32_e32 v5, s11
	v_add_u32_e32 v6, s9, v0
	v_cmp_ne_u32_e64 s[0:1], 1, v1
	s_branch .LBB7_3
.LBB7_2:                                ;   in Loop: Header=BB7_3 Depth=1
	v_add_co_u32_e32 v3, vcc, s2, v3
	s_add_i32 s12, s12, s9
	s_waitcnt vmcnt(0)
	v_add_u32_e32 v1, v1, v9
	v_addc_co_u32_e32 v4, vcc, v8, v4, vcc
	s_cmp_ge_i32 s12, s8
	global_store_dword v[3:4], v1, off
	s_cbranch_scc1 .LBB7_8
.LBB7_3:                                ; =>This Loop Header: Depth=1
                                        ;     Child Loop BB7_5 Depth 2
	v_add_u32_e32 v1, s12, v0
	v_lshlrev_b64 v[3:4], 2, v[1:2]
	v_add_co_u32_e32 v9, vcc, s10, v3
	v_addc_co_u32_e32 v10, vcc, v5, v4, vcc
	global_load_dword v1, v[9:10], off
	s_and_b64 vcc, exec, s[0:1]
	s_waitcnt vmcnt(0)
	ds_write_b32 v7, v1
	s_cbranch_vccnz .LBB7_6
; %bb.4:                                ;   in Loop: Header=BB7_3 Depth=1
	s_mov_b32 s11, 1
.LBB7_5:                                ;   Parent Loop BB7_3 Depth=1
                                        ; =>  This Inner Loop Header: Depth=2
	v_subrev_u32_e32 v9, s11, v6
	v_lshl_add_u32 v9, v9, 2, 0
	s_waitcnt lgkmcnt(0)
	s_barrier
	ds_read_b32 v1, v7
	ds_read_b32 v9, v9
	s_lshl_b32 s11, s11, 1
	s_cmp_ge_u32 s11, s9
	s_waitcnt lgkmcnt(0)
	s_barrier
	v_add_u32_e32 v1, v9, v1
	ds_write_b32 v7, v1
	s_cbranch_scc0 .LBB7_5
.LBB7_6:                                ;   in Loop: Header=BB7_3 Depth=1
	s_cmp_lg_u32 s12, s7
	v_mov_b32_e32 v9, 0
	s_cbranch_scc0 .LBB7_2
; %bb.7:                                ;   in Loop: Header=BB7_3 Depth=1
	s_ashr_i32 s13, s12, 31
	s_lshl_b64 s[14:15], s[12:13], 2
	s_add_u32 s14, s2, s14
	s_addc_u32 s15, s3, s15
	global_load_dword v9, v2, s[14:15] offset:-4
	s_branch .LBB7_2
.LBB7_8:
	v_cmp_eq_u32_e32 vcc, 0, v0
	s_waitcnt vmcnt(0) lgkmcnt(0)
	s_barrier
	s_and_saveexec_b64 s[0:1], vcc
	s_cbranch_execz .LBB7_10
; %bb.9:
	s_load_dwordx2 s[0:1], s[4:5], 0x10
	s_mov_b32 s7, 0
	s_lshl_b64 s[4:5], s[6:7], 2
	v_mov_b32_e32 v0, 0
	s_waitcnt lgkmcnt(0)
	s_add_u32 s0, s0, s4
	s_addc_u32 s1, s1, s5
	s_ashr_i32 s9, s8, 31
	s_lshl_b64 s[4:5], s[8:9], 2
	s_add_u32 s2, s2, s4
	s_addc_u32 s3, s3, s5
	global_load_dword v1, v0, s[2:3] offset:-4
	s_waitcnt vmcnt(0)
	global_store_dword v0, v1, s[0:1]
.LBB7_10:
	s_endpgm
	.section	.rodata,"a",@progbits
	.p2align	6, 0x0
	.amdhsa_kernel _Z17rank_gpu_kernel_4PKiPiS1_ii
		.amdhsa_group_segment_fixed_size 0
		.amdhsa_private_segment_fixed_size 0
		.amdhsa_kernarg_size 288
		.amdhsa_user_sgpr_count 6
		.amdhsa_user_sgpr_private_segment_buffer 1
		.amdhsa_user_sgpr_dispatch_ptr 0
		.amdhsa_user_sgpr_queue_ptr 0
		.amdhsa_user_sgpr_kernarg_segment_ptr 1
		.amdhsa_user_sgpr_dispatch_id 0
		.amdhsa_user_sgpr_flat_scratch_init 0
		.amdhsa_user_sgpr_private_segment_size 0
		.amdhsa_uses_dynamic_stack 0
		.amdhsa_system_sgpr_private_segment_wavefront_offset 0
		.amdhsa_system_sgpr_workgroup_id_x 1
		.amdhsa_system_sgpr_workgroup_id_y 0
		.amdhsa_system_sgpr_workgroup_id_z 0
		.amdhsa_system_sgpr_workgroup_info 0
		.amdhsa_system_vgpr_workitem_id 0
		.amdhsa_next_free_vgpr 11
		.amdhsa_next_free_sgpr 16
		.amdhsa_reserve_vcc 1
		.amdhsa_reserve_flat_scratch 0
		.amdhsa_float_round_mode_32 0
		.amdhsa_float_round_mode_16_64 0
		.amdhsa_float_denorm_mode_32 3
		.amdhsa_float_denorm_mode_16_64 3
		.amdhsa_dx10_clamp 1
		.amdhsa_ieee_mode 1
		.amdhsa_fp16_overflow 0
		.amdhsa_exception_fp_ieee_invalid_op 0
		.amdhsa_exception_fp_denorm_src 0
		.amdhsa_exception_fp_ieee_div_zero 0
		.amdhsa_exception_fp_ieee_overflow 0
		.amdhsa_exception_fp_ieee_underflow 0
		.amdhsa_exception_fp_ieee_inexact 0
		.amdhsa_exception_int_div_zero 0
	.end_amdhsa_kernel
	.text
.Lfunc_end7:
	.size	_Z17rank_gpu_kernel_4PKiPiS1_ii, .Lfunc_end7-_Z17rank_gpu_kernel_4PKiPiS1_ii
                                        ; -- End function
	.set _Z17rank_gpu_kernel_4PKiPiS1_ii.num_vgpr, 11
	.set _Z17rank_gpu_kernel_4PKiPiS1_ii.num_agpr, 0
	.set _Z17rank_gpu_kernel_4PKiPiS1_ii.numbered_sgpr, 16
	.set _Z17rank_gpu_kernel_4PKiPiS1_ii.num_named_barrier, 0
	.set _Z17rank_gpu_kernel_4PKiPiS1_ii.private_seg_size, 0
	.set _Z17rank_gpu_kernel_4PKiPiS1_ii.uses_vcc, 1
	.set _Z17rank_gpu_kernel_4PKiPiS1_ii.uses_flat_scratch, 0
	.set _Z17rank_gpu_kernel_4PKiPiS1_ii.has_dyn_sized_stack, 0
	.set _Z17rank_gpu_kernel_4PKiPiS1_ii.has_recursion, 0
	.set _Z17rank_gpu_kernel_4PKiPiS1_ii.has_indirect_call, 0
	.section	.AMDGPU.csdata,"",@progbits
; Kernel info:
; codeLenInByte = 528
; TotalNumSgprs: 20
; NumVgprs: 11
; ScratchSize: 0
; MemoryBound: 0
; FloatMode: 240
; IeeeMode: 1
; LDSByteSize: 0 bytes/workgroup (compile time only)
; SGPRBlocks: 2
; VGPRBlocks: 2
; NumSGPRsForWavesPerEU: 20
; NumVGPRsForWavesPerEU: 11
; Occupancy: 10
; WaveLimiterHint : 0
; COMPUTE_PGM_RSRC2:SCRATCH_EN: 0
; COMPUTE_PGM_RSRC2:USER_SGPR: 6
; COMPUTE_PGM_RSRC2:TRAP_HANDLER: 0
; COMPUTE_PGM_RSRC2:TGID_X_EN: 1
; COMPUTE_PGM_RSRC2:TGID_Y_EN: 0
; COMPUTE_PGM_RSRC2:TGID_Z_EN: 0
; COMPUTE_PGM_RSRC2:TIDIG_COMP_CNT: 0
	.text
	.protected	_Z17rank_gpu_kernel_5PKiPiii ; -- Begin function _Z17rank_gpu_kernel_5PKiPiii
	.globl	_Z17rank_gpu_kernel_5PKiPiii
	.p2align	8
	.type	_Z17rank_gpu_kernel_5PKiPiii,@function
_Z17rank_gpu_kernel_5PKiPiii:           ; @_Z17rank_gpu_kernel_5PKiPiii
; %bb.0:
	s_load_dwordx4 s[0:3], s[4:5], 0x0
	s_load_dword s6, s[4:5], 0x24
	v_lshlrev_b32_e32 v1, 2, v0
	v_mov_b32_e32 v2, 0
	v_add_u32_e32 v4, 0, v1
	s_waitcnt lgkmcnt(0)
	global_load_dword v3, v1, s[0:1]
	s_and_b32 s0, s6, 0xffff
	ds_write_b32 v4, v2
	s_cmp_lt_u32 s0, 2
	v_lshl_add_u32 v2, s0, 2, v4
	s_waitcnt vmcnt(0)
	ds_write_b32 v2, v3
	s_cbranch_scc1 .LBB8_3
; %bb.1:
	v_add_u32_e32 v0, s0, v0
	s_mov_b32 s1, 1
.LBB8_2:                                ; =>This Inner Loop Header: Depth=1
	v_subrev_u32_e32 v4, s1, v0
	v_lshl_add_u32 v4, v4, 2, 0
	s_waitcnt lgkmcnt(0)
	s_barrier
	ds_read_b32 v3, v2
	ds_read_b32 v4, v4
	s_lshl_b32 s1, s1, 1
	s_cmp_ge_u32 s1, s0
	s_waitcnt lgkmcnt(0)
	s_barrier
	v_add_u32_e32 v3, v4, v3
	ds_write_b32 v2, v3
	s_cbranch_scc0 .LBB8_2
.LBB8_3:
	v_add_u32_e32 v0, -4, v2
	s_waitcnt lgkmcnt(0)
	s_barrier
	ds_read_b32 v0, v0
	s_waitcnt lgkmcnt(0)
	global_store_dword v1, v0, s[2:3]
	s_endpgm
	.section	.rodata,"a",@progbits
	.p2align	6, 0x0
	.amdhsa_kernel _Z17rank_gpu_kernel_5PKiPiii
		.amdhsa_group_segment_fixed_size 0
		.amdhsa_private_segment_fixed_size 0
		.amdhsa_kernarg_size 280
		.amdhsa_user_sgpr_count 6
		.amdhsa_user_sgpr_private_segment_buffer 1
		.amdhsa_user_sgpr_dispatch_ptr 0
		.amdhsa_user_sgpr_queue_ptr 0
		.amdhsa_user_sgpr_kernarg_segment_ptr 1
		.amdhsa_user_sgpr_dispatch_id 0
		.amdhsa_user_sgpr_flat_scratch_init 0
		.amdhsa_user_sgpr_private_segment_size 0
		.amdhsa_uses_dynamic_stack 0
		.amdhsa_system_sgpr_private_segment_wavefront_offset 0
		.amdhsa_system_sgpr_workgroup_id_x 1
		.amdhsa_system_sgpr_workgroup_id_y 0
		.amdhsa_system_sgpr_workgroup_id_z 0
		.amdhsa_system_sgpr_workgroup_info 0
		.amdhsa_system_vgpr_workitem_id 0
		.amdhsa_next_free_vgpr 5
		.amdhsa_next_free_sgpr 7
		.amdhsa_reserve_vcc 0
		.amdhsa_reserve_flat_scratch 0
		.amdhsa_float_round_mode_32 0
		.amdhsa_float_round_mode_16_64 0
		.amdhsa_float_denorm_mode_32 3
		.amdhsa_float_denorm_mode_16_64 3
		.amdhsa_dx10_clamp 1
		.amdhsa_ieee_mode 1
		.amdhsa_fp16_overflow 0
		.amdhsa_exception_fp_ieee_invalid_op 0
		.amdhsa_exception_fp_denorm_src 0
		.amdhsa_exception_fp_ieee_div_zero 0
		.amdhsa_exception_fp_ieee_overflow 0
		.amdhsa_exception_fp_ieee_underflow 0
		.amdhsa_exception_fp_ieee_inexact 0
		.amdhsa_exception_int_div_zero 0
	.end_amdhsa_kernel
	.text
.Lfunc_end8:
	.size	_Z17rank_gpu_kernel_5PKiPiii, .Lfunc_end8-_Z17rank_gpu_kernel_5PKiPiii
                                        ; -- End function
	.set _Z17rank_gpu_kernel_5PKiPiii.num_vgpr, 5
	.set _Z17rank_gpu_kernel_5PKiPiii.num_agpr, 0
	.set _Z17rank_gpu_kernel_5PKiPiii.numbered_sgpr, 7
	.set _Z17rank_gpu_kernel_5PKiPiii.num_named_barrier, 0
	.set _Z17rank_gpu_kernel_5PKiPiii.private_seg_size, 0
	.set _Z17rank_gpu_kernel_5PKiPiii.uses_vcc, 0
	.set _Z17rank_gpu_kernel_5PKiPiii.uses_flat_scratch, 0
	.set _Z17rank_gpu_kernel_5PKiPiii.has_dyn_sized_stack, 0
	.set _Z17rank_gpu_kernel_5PKiPiii.has_recursion, 0
	.set _Z17rank_gpu_kernel_5PKiPiii.has_indirect_call, 0
	.section	.AMDGPU.csdata,"",@progbits
; Kernel info:
; codeLenInByte = 196
; TotalNumSgprs: 11
; NumVgprs: 5
; ScratchSize: 0
; MemoryBound: 0
; FloatMode: 240
; IeeeMode: 1
; LDSByteSize: 0 bytes/workgroup (compile time only)
; SGPRBlocks: 1
; VGPRBlocks: 1
; NumSGPRsForWavesPerEU: 11
; NumVGPRsForWavesPerEU: 5
; Occupancy: 10
; WaveLimiterHint : 0
; COMPUTE_PGM_RSRC2:SCRATCH_EN: 0
; COMPUTE_PGM_RSRC2:USER_SGPR: 6
; COMPUTE_PGM_RSRC2:TRAP_HANDLER: 0
; COMPUTE_PGM_RSRC2:TGID_X_EN: 1
; COMPUTE_PGM_RSRC2:TGID_Y_EN: 0
; COMPUTE_PGM_RSRC2:TGID_Z_EN: 0
; COMPUTE_PGM_RSRC2:TIDIG_COMP_CNT: 0
	.text
	.protected	_Z17rank_gpu_kernel_6PKiPiS0_ii ; -- Begin function _Z17rank_gpu_kernel_6PKiPiS0_ii
	.globl	_Z17rank_gpu_kernel_6PKiPiS0_ii
	.p2align	8
	.type	_Z17rank_gpu_kernel_6PKiPiS0_ii,@function
_Z17rank_gpu_kernel_6PKiPiS0_ii:        ; @_Z17rank_gpu_kernel_6PKiPiS0_ii
; %bb.0:
	s_load_dword s0, s[4:5], 0x18
	s_waitcnt lgkmcnt(0)
	s_abs_i32 s1, s0
	v_cvt_f32_u32_e32 v1, s1
	s_sub_i32 s2, 0, s1
	s_ashr_i32 s0, s0, 31
	v_rcp_iflag_f32_e32 v1, v1
	v_mul_f32_e32 v1, 0x4f7ffffe, v1
	v_cvt_u32_f32_e32 v1, v1
	v_readfirstlane_b32 s3, v1
	s_mul_i32 s2, s2, s3
	s_mul_hi_u32 s2, s3, s2
	s_add_i32 s3, s3, s2
	s_lshr_b32 s2, s3, 21
	s_mul_i32 s3, s2, s1
	s_sub_i32 s3, 0x800, s3
	s_add_i32 s7, s2, 1
	s_sub_i32 s8, s3, s1
	s_cmp_ge_u32 s3, s1
	s_cselect_b32 s2, s7, s2
	s_cselect_b32 s3, s8, s3
	s_add_i32 s7, s2, 1
	s_cmp_ge_u32 s3, s1
	s_cselect_b32 s1, s7, s2
	s_xor_b32 s1, s1, s0
	s_sub_i32 s9, s1, s0
	s_cmp_lt_i32 s9, 1
	s_mov_b32 s7, 0
	s_cbranch_scc1 .LBB9_3
; %bb.1:
	s_load_dwordx4 s[0:3], s[4:5], 0x0
	s_load_dwordx2 s[10:11], s[4:5], 0x10
	s_mul_i32 s8, s9, s6
	s_add_i32 s9, s8, s9
	s_load_dword s12, s[4:5], 0x2c
	s_lshl_b64 s[4:5], s[6:7], 2
	s_waitcnt lgkmcnt(0)
	s_add_u32 s4, s10, s4
	s_addc_u32 s5, s11, s5
	s_load_dword s4, s[4:5], 0x0
	s_and_b32 s5, s12, 0xffff
	v_mov_b32_e32 v2, 0
	v_mov_b32_e32 v3, s1
	;; [unrolled: 1-line block ×3, first 2 shown]
.LBB9_2:                                ; =>This Inner Loop Header: Depth=1
	v_add_u32_e32 v1, s8, v0
	v_lshlrev_b64 v[5:6], 2, v[1:2]
	s_add_i32 s8, s8, s5
	v_add_co_u32_e32 v7, vcc, s0, v5
	v_addc_co_u32_e32 v8, vcc, v3, v6, vcc
	global_load_dword v1, v[7:8], off
	v_add_co_u32_e32 v5, vcc, s2, v5
	s_cmp_ge_i32 s8, s9
	v_addc_co_u32_e32 v6, vcc, v4, v6, vcc
	s_waitcnt vmcnt(0) lgkmcnt(0)
	v_add_u32_e32 v1, s4, v1
	global_store_dword v[5:6], v1, off
	s_cbranch_scc0 .LBB9_2
.LBB9_3:
	s_endpgm
	.section	.rodata,"a",@progbits
	.p2align	6, 0x0
	.amdhsa_kernel _Z17rank_gpu_kernel_6PKiPiS0_ii
		.amdhsa_group_segment_fixed_size 0
		.amdhsa_private_segment_fixed_size 0
		.amdhsa_kernarg_size 288
		.amdhsa_user_sgpr_count 6
		.amdhsa_user_sgpr_private_segment_buffer 1
		.amdhsa_user_sgpr_dispatch_ptr 0
		.amdhsa_user_sgpr_queue_ptr 0
		.amdhsa_user_sgpr_kernarg_segment_ptr 1
		.amdhsa_user_sgpr_dispatch_id 0
		.amdhsa_user_sgpr_flat_scratch_init 0
		.amdhsa_user_sgpr_private_segment_size 0
		.amdhsa_uses_dynamic_stack 0
		.amdhsa_system_sgpr_private_segment_wavefront_offset 0
		.amdhsa_system_sgpr_workgroup_id_x 1
		.amdhsa_system_sgpr_workgroup_id_y 0
		.amdhsa_system_sgpr_workgroup_id_z 0
		.amdhsa_system_sgpr_workgroup_info 0
		.amdhsa_system_vgpr_workitem_id 0
		.amdhsa_next_free_vgpr 9
		.amdhsa_next_free_sgpr 13
		.amdhsa_reserve_vcc 1
		.amdhsa_reserve_flat_scratch 0
		.amdhsa_float_round_mode_32 0
		.amdhsa_float_round_mode_16_64 0
		.amdhsa_float_denorm_mode_32 3
		.amdhsa_float_denorm_mode_16_64 3
		.amdhsa_dx10_clamp 1
		.amdhsa_ieee_mode 1
		.amdhsa_fp16_overflow 0
		.amdhsa_exception_fp_ieee_invalid_op 0
		.amdhsa_exception_fp_denorm_src 0
		.amdhsa_exception_fp_ieee_div_zero 0
		.amdhsa_exception_fp_ieee_overflow 0
		.amdhsa_exception_fp_ieee_underflow 0
		.amdhsa_exception_fp_ieee_inexact 0
		.amdhsa_exception_int_div_zero 0
	.end_amdhsa_kernel
	.text
.Lfunc_end9:
	.size	_Z17rank_gpu_kernel_6PKiPiS0_ii, .Lfunc_end9-_Z17rank_gpu_kernel_6PKiPiS0_ii
                                        ; -- End function
	.set _Z17rank_gpu_kernel_6PKiPiS0_ii.num_vgpr, 9
	.set _Z17rank_gpu_kernel_6PKiPiS0_ii.num_agpr, 0
	.set _Z17rank_gpu_kernel_6PKiPiS0_ii.numbered_sgpr, 13
	.set _Z17rank_gpu_kernel_6PKiPiS0_ii.num_named_barrier, 0
	.set _Z17rank_gpu_kernel_6PKiPiS0_ii.private_seg_size, 0
	.set _Z17rank_gpu_kernel_6PKiPiS0_ii.uses_vcc, 1
	.set _Z17rank_gpu_kernel_6PKiPiS0_ii.uses_flat_scratch, 0
	.set _Z17rank_gpu_kernel_6PKiPiS0_ii.has_dyn_sized_stack, 0
	.set _Z17rank_gpu_kernel_6PKiPiS0_ii.has_recursion, 0
	.set _Z17rank_gpu_kernel_6PKiPiS0_ii.has_indirect_call, 0
	.section	.AMDGPU.csdata,"",@progbits
; Kernel info:
; codeLenInByte = 272
; TotalNumSgprs: 17
; NumVgprs: 9
; ScratchSize: 0
; MemoryBound: 0
; FloatMode: 240
; IeeeMode: 1
; LDSByteSize: 0 bytes/workgroup (compile time only)
; SGPRBlocks: 2
; VGPRBlocks: 2
; NumSGPRsForWavesPerEU: 17
; NumVGPRsForWavesPerEU: 9
; Occupancy: 10
; WaveLimiterHint : 0
; COMPUTE_PGM_RSRC2:SCRATCH_EN: 0
; COMPUTE_PGM_RSRC2:USER_SGPR: 6
; COMPUTE_PGM_RSRC2:TRAP_HANDLER: 0
; COMPUTE_PGM_RSRC2:TGID_X_EN: 1
; COMPUTE_PGM_RSRC2:TGID_Y_EN: 0
; COMPUTE_PGM_RSRC2:TGID_Z_EN: 0
; COMPUTE_PGM_RSRC2:TIDIG_COMP_CNT: 0
	.text
	.protected	_Z17rank_gpu_kernel_7PKiS0_S0_Piiii ; -- Begin function _Z17rank_gpu_kernel_7PKiS0_S0_Piiii
	.globl	_Z17rank_gpu_kernel_7PKiS0_S0_Piiii
	.p2align	8
	.type	_Z17rank_gpu_kernel_7PKiS0_S0_Piiii,@function
_Z17rank_gpu_kernel_7PKiS0_S0_Piiii:    ; @_Z17rank_gpu_kernel_7PKiS0_S0_Piiii
; %bb.0:
	s_load_dwordx4 s[0:3], s[4:5], 0x0
	s_load_dwordx2 s[6:7], s[4:5], 0x10
	s_mov_b32 s13, 0
	s_waitcnt lgkmcnt(0)
	s_load_dword s8, s[0:1], 0x0
	s_load_dword s12, s[4:5], 0x20
	s_waitcnt lgkmcnt(0)
	s_add_i32 s9, s8, -1
	s_cmpk_gt_u32 s9, 0xfffe
	s_cbranch_scc0 .LBB10_9
; %bb.1:
	s_load_dword s8, s[0:1], 0x4
	s_waitcnt lgkmcnt(0)
	s_add_i32 s9, s8, -1
	s_cmpk_gt_u32 s9, 0xfffe
	s_cbranch_scc0 .LBB10_10
.LBB10_2:
	s_load_dword s8, s[0:1], 0x8
	s_waitcnt lgkmcnt(0)
	s_add_i32 s9, s8, -1
	s_cmpk_gt_u32 s9, 0xfffe
	s_cbranch_scc1 .LBB10_4
.LBB10_3:
	s_mov_b32 s9, 0
	s_lshl_b64 s[8:9], s[8:9], 2
	s_add_u32 s8, s2, s8
	s_addc_u32 s9, s3, s9
	s_add_u32 s8, s8, -4
	s_addc_u32 s9, s9, -1
	s_load_dword s10, s[6:7], 0x8
	s_load_dword s11, s[8:9], 0x0
	s_waitcnt lgkmcnt(0)
	s_add_i32 s10, s10, s12
	s_cmp_eq_u32 s11, s10
	s_cselect_b64 s[8:9], -1, 0
	s_cmp_lg_u64 s[8:9], 0
	s_addc_u32 s13, s13, 0
.LBB10_4:
	s_load_dword s10, s[0:1], 0xc
	s_load_dwordx2 s[8:9], s[4:5], 0x18
	s_waitcnt lgkmcnt(0)
	s_add_i32 s4, s10, -1
	s_cmpk_gt_u32 s4, 0xfffe
	s_cbranch_scc1 .LBB10_6
; %bb.5:
	s_mov_b32 s11, 0
	s_lshl_b64 s[4:5], s[10:11], 2
	s_add_u32 s4, s2, s4
	s_addc_u32 s5, s3, s5
	s_add_u32 s4, s4, -4
	s_addc_u32 s5, s5, -1
	s_load_dword s10, s[6:7], 0xc
	s_load_dword s11, s[4:5], 0x0
	s_waitcnt lgkmcnt(0)
	s_sub_i32 s4, s10, s12
	s_cmp_eq_u32 s11, s4
	s_cselect_b64 s[4:5], -1, 0
	s_cmp_lg_u64 s[4:5], 0
	s_addc_u32 s13, s13, 0
.LBB10_6:
	s_load_dword s0, s[0:1], 0x10
	s_waitcnt lgkmcnt(0)
	s_add_i32 s1, s0, -1
	s_cmpk_gt_u32 s1, 0xfffe
	s_cbranch_scc1 .LBB10_8
; %bb.7:
	s_mov_b32 s1, 0
	s_lshl_b64 s[0:1], s[0:1], 2
	s_add_u32 s0, s2, s0
	s_addc_u32 s1, s3, s1
	s_add_u32 s0, s0, -4
	s_addc_u32 s1, s1, -1
	s_load_dword s2, s[6:7], 0x10
	s_load_dword s3, s[0:1], 0x0
	s_waitcnt lgkmcnt(0)
	s_sub_i32 s0, s2, s12
	s_cmp_eq_u32 s3, s0
	s_cselect_b64 s[0:1], -1, 0
	s_cmp_lg_u64 s[0:1], 0
	s_addc_u32 s13, s13, 0
.LBB10_8:
	s_load_dword s0, s[8:9], 0x0
	v_mov_b32_e32 v0, 0
	s_waitcnt lgkmcnt(0)
	s_add_i32 s0, s0, s13
	v_mov_b32_e32 v1, s0
	global_store_dword v0, v1, s[8:9]
	s_endpgm
.LBB10_9:
	s_mov_b32 s9, 0
	s_lshl_b64 s[8:9], s[8:9], 2
	s_add_u32 s8, s2, s8
	s_addc_u32 s9, s3, s9
	s_add_u32 s8, s8, -4
	s_addc_u32 s9, s9, -1
	s_load_dword s10, s[6:7], 0x0
	s_load_dword s11, s[8:9], 0x0
	s_waitcnt lgkmcnt(0)
	s_add_i32 s10, s10, s12
	s_cmp_eq_u32 s11, s10
	s_cselect_b64 s[8:9], -1, 0
	v_cndmask_b32_e64 v0, 0, 1, s[8:9]
	v_readfirstlane_b32 s13, v0
	s_load_dword s8, s[0:1], 0x4
	s_waitcnt lgkmcnt(0)
	s_add_i32 s9, s8, -1
	s_cmpk_gt_u32 s9, 0xfffe
	s_cbranch_scc1 .LBB10_2
.LBB10_10:
	s_mov_b32 s9, 0
	s_lshl_b64 s[8:9], s[8:9], 2
	s_add_u32 s8, s2, s8
	s_addc_u32 s9, s3, s9
	s_add_u32 s8, s8, -4
	s_addc_u32 s9, s9, -1
	s_load_dword s10, s[6:7], 0x4
	s_load_dword s11, s[8:9], 0x0
	s_waitcnt lgkmcnt(0)
	s_add_i32 s10, s10, s12
	s_cmp_eq_u32 s11, s10
	s_cselect_b64 s[8:9], -1, 0
	s_cmp_lg_u64 s[8:9], 0
	s_addc_u32 s13, s13, 0
	s_load_dword s8, s[0:1], 0x8
	s_waitcnt lgkmcnt(0)
	s_add_i32 s9, s8, -1
	s_cmpk_gt_u32 s9, 0xfffe
	s_cbranch_scc0 .LBB10_3
	s_branch .LBB10_4
	.section	.rodata,"a",@progbits
	.p2align	6, 0x0
	.amdhsa_kernel _Z17rank_gpu_kernel_7PKiS0_S0_Piiii
		.amdhsa_group_segment_fixed_size 0
		.amdhsa_private_segment_fixed_size 0
		.amdhsa_kernarg_size 44
		.amdhsa_user_sgpr_count 6
		.amdhsa_user_sgpr_private_segment_buffer 1
		.amdhsa_user_sgpr_dispatch_ptr 0
		.amdhsa_user_sgpr_queue_ptr 0
		.amdhsa_user_sgpr_kernarg_segment_ptr 1
		.amdhsa_user_sgpr_dispatch_id 0
		.amdhsa_user_sgpr_flat_scratch_init 0
		.amdhsa_user_sgpr_private_segment_size 0
		.amdhsa_uses_dynamic_stack 0
		.amdhsa_system_sgpr_private_segment_wavefront_offset 0
		.amdhsa_system_sgpr_workgroup_id_x 1
		.amdhsa_system_sgpr_workgroup_id_y 0
		.amdhsa_system_sgpr_workgroup_id_z 0
		.amdhsa_system_sgpr_workgroup_info 0
		.amdhsa_system_vgpr_workitem_id 0
		.amdhsa_next_free_vgpr 2
		.amdhsa_next_free_sgpr 14
		.amdhsa_reserve_vcc 0
		.amdhsa_reserve_flat_scratch 0
		.amdhsa_float_round_mode_32 0
		.amdhsa_float_round_mode_16_64 0
		.amdhsa_float_denorm_mode_32 3
		.amdhsa_float_denorm_mode_16_64 3
		.amdhsa_dx10_clamp 1
		.amdhsa_ieee_mode 1
		.amdhsa_fp16_overflow 0
		.amdhsa_exception_fp_ieee_invalid_op 0
		.amdhsa_exception_fp_denorm_src 0
		.amdhsa_exception_fp_ieee_div_zero 0
		.amdhsa_exception_fp_ieee_overflow 0
		.amdhsa_exception_fp_ieee_underflow 0
		.amdhsa_exception_fp_ieee_inexact 0
		.amdhsa_exception_int_div_zero 0
	.end_amdhsa_kernel
	.text
.Lfunc_end10:
	.size	_Z17rank_gpu_kernel_7PKiS0_S0_Piiii, .Lfunc_end10-_Z17rank_gpu_kernel_7PKiS0_S0_Piiii
                                        ; -- End function
	.set _Z17rank_gpu_kernel_7PKiS0_S0_Piiii.num_vgpr, 2
	.set _Z17rank_gpu_kernel_7PKiS0_S0_Piiii.num_agpr, 0
	.set _Z17rank_gpu_kernel_7PKiS0_S0_Piiii.numbered_sgpr, 14
	.set _Z17rank_gpu_kernel_7PKiS0_S0_Piiii.num_named_barrier, 0
	.set _Z17rank_gpu_kernel_7PKiS0_S0_Piiii.private_seg_size, 0
	.set _Z17rank_gpu_kernel_7PKiS0_S0_Piiii.uses_vcc, 0
	.set _Z17rank_gpu_kernel_7PKiS0_S0_Piiii.uses_flat_scratch, 0
	.set _Z17rank_gpu_kernel_7PKiS0_S0_Piiii.has_dyn_sized_stack, 0
	.set _Z17rank_gpu_kernel_7PKiS0_S0_Piiii.has_recursion, 0
	.set _Z17rank_gpu_kernel_7PKiS0_S0_Piiii.has_indirect_call, 0
	.section	.AMDGPU.csdata,"",@progbits
; Kernel info:
; codeLenInByte = 572
; TotalNumSgprs: 18
; NumVgprs: 2
; ScratchSize: 0
; MemoryBound: 0
; FloatMode: 240
; IeeeMode: 1
; LDSByteSize: 0 bytes/workgroup (compile time only)
; SGPRBlocks: 2
; VGPRBlocks: 0
; NumSGPRsForWavesPerEU: 18
; NumVGPRsForWavesPerEU: 2
; Occupancy: 10
; WaveLimiterHint : 1
; COMPUTE_PGM_RSRC2:SCRATCH_EN: 0
; COMPUTE_PGM_RSRC2:USER_SGPR: 6
; COMPUTE_PGM_RSRC2:TRAP_HANDLER: 0
; COMPUTE_PGM_RSRC2:TGID_X_EN: 1
; COMPUTE_PGM_RSRC2:TGID_Y_EN: 0
; COMPUTE_PGM_RSRC2:TGID_Z_EN: 0
; COMPUTE_PGM_RSRC2:TIDIG_COMP_CNT: 0
	.section	.AMDGPU.gpr_maximums,"",@progbits
	.set amdgpu.max_num_vgpr, 0
	.set amdgpu.max_num_agpr, 0
	.set amdgpu.max_num_sgpr, 0
	.section	.AMDGPU.csdata,"",@progbits
	.type	__hip_cuid_37559b7f251d3bc3,@object ; @__hip_cuid_37559b7f251d3bc3
	.section	.bss,"aw",@nobits
	.globl	__hip_cuid_37559b7f251d3bc3
__hip_cuid_37559b7f251d3bc3:
	.byte	0                               ; 0x0
	.size	__hip_cuid_37559b7f251d3bc3, 1

	.ident	"AMD clang version 22.0.0git (https://github.com/RadeonOpenCompute/llvm-project roc-7.2.4 26084 f58b06dce1f9c15707c5f808fd002e18c2accf7e)"
	.section	".note.GNU-stack","",@progbits
	.addrsig
	.addrsig_sym __hip_cuid_37559b7f251d3bc3
	.amdgpu_metadata
---
amdhsa.kernels:
  - .args:
      - .address_space:  global
        .offset:         0
        .size:           8
        .value_kind:     global_buffer
      - .offset:         8
        .size:           8
        .value_kind:     by_value
      - .offset:         16
        .size:           8
        .value_kind:     by_value
      - .offset:         24
        .size:           4
        .value_kind:     by_value
      - .offset:         28
        .size:           4
        .value_kind:     by_value
      - .offset:         32
        .size:           4
        .value_kind:     hidden_block_count_x
      - .offset:         36
        .size:           4
        .value_kind:     hidden_block_count_y
      - .offset:         40
        .size:           4
        .value_kind:     hidden_block_count_z
      - .offset:         44
        .size:           2
        .value_kind:     hidden_group_size_x
      - .offset:         46
        .size:           2
        .value_kind:     hidden_group_size_y
      - .offset:         48
        .size:           2
        .value_kind:     hidden_group_size_z
      - .offset:         50
        .size:           2
        .value_kind:     hidden_remainder_x
      - .offset:         52
        .size:           2
        .value_kind:     hidden_remainder_y
      - .offset:         54
        .size:           2
        .value_kind:     hidden_remainder_z
      - .offset:         72
        .size:           8
        .value_kind:     hidden_global_offset_x
      - .offset:         80
        .size:           8
        .value_kind:     hidden_global_offset_y
      - .offset:         88
        .size:           8
        .value_kind:     hidden_global_offset_z
      - .offset:         96
        .size:           2
        .value_kind:     hidden_grid_dims
    .group_segment_fixed_size: 0
    .kernarg_segment_align: 8
    .kernarg_segment_size: 288
    .language:       OpenCL C
    .language_version:
      - 2
      - 0
    .max_flat_workgroup_size: 1024
    .name:           _Z21create_seq_gpu_kernelPiddii
    .private_segment_fixed_size: 0
    .sgpr_count:     39
    .sgpr_spill_count: 0
    .symbol:         _Z21create_seq_gpu_kernelPiddii.kd
    .uniform_work_group_size: 1
    .uses_dynamic_stack: false
    .vgpr_count:     21
    .vgpr_spill_count: 0
    .wavefront_size: 64
  - .args:
      - .actual_access:  read_only
        .address_space:  global
        .offset:         0
        .size:           8
        .value_kind:     global_buffer
      - .actual_access:  write_only
        .address_space:  global
        .offset:         8
        .size:           8
        .value_kind:     global_buffer
      - .offset:         16
        .size:           4
        .value_kind:     by_value
      - .offset:         20
        .size:           4
        .value_kind:     by_value
      - .offset:         24
        .size:           4
        .value_kind:     hidden_block_count_x
      - .offset:         28
        .size:           4
        .value_kind:     hidden_block_count_y
      - .offset:         32
        .size:           4
        .value_kind:     hidden_block_count_z
      - .offset:         36
        .size:           2
        .value_kind:     hidden_group_size_x
      - .offset:         38
        .size:           2
        .value_kind:     hidden_group_size_y
      - .offset:         40
        .size:           2
        .value_kind:     hidden_group_size_z
      - .offset:         42
        .size:           2
        .value_kind:     hidden_remainder_x
      - .offset:         44
        .size:           2
        .value_kind:     hidden_remainder_y
      - .offset:         46
        .size:           2
        .value_kind:     hidden_remainder_z
      - .offset:         64
        .size:           8
        .value_kind:     hidden_global_offset_x
      - .offset:         72
        .size:           8
        .value_kind:     hidden_global_offset_y
      - .offset:         80
        .size:           8
        .value_kind:     hidden_global_offset_z
      - .offset:         88
        .size:           2
        .value_kind:     hidden_grid_dims
    .group_segment_fixed_size: 0
    .kernarg_segment_align: 8
    .kernarg_segment_size: 280
    .language:       OpenCL C
    .language_version:
      - 2
      - 0
    .max_flat_workgroup_size: 1024
    .name:           _Z24full_verify_gpu_kernel_1PKiPiii
    .private_segment_fixed_size: 0
    .sgpr_count:     12
    .sgpr_spill_count: 0
    .symbol:         _Z24full_verify_gpu_kernel_1PKiPiii.kd
    .uniform_work_group_size: 1
    .uses_dynamic_stack: false
    .vgpr_count:     4
    .vgpr_spill_count: 0
    .wavefront_size: 64
  - .args:
      - .actual_access:  read_only
        .address_space:  global
        .offset:         0
        .size:           8
        .value_kind:     global_buffer
      - .address_space:  global
        .offset:         8
        .size:           8
        .value_kind:     global_buffer
      - .actual_access:  write_only
        .address_space:  global
        .offset:         16
        .size:           8
        .value_kind:     global_buffer
      - .offset:         24
        .size:           4
        .value_kind:     by_value
      - .offset:         28
        .size:           4
        .value_kind:     by_value
      - .offset:         32
        .size:           4
        .value_kind:     hidden_block_count_x
      - .offset:         36
        .size:           4
        .value_kind:     hidden_block_count_y
      - .offset:         40
        .size:           4
        .value_kind:     hidden_block_count_z
      - .offset:         44
        .size:           2
        .value_kind:     hidden_group_size_x
      - .offset:         46
        .size:           2
        .value_kind:     hidden_group_size_y
      - .offset:         48
        .size:           2
        .value_kind:     hidden_group_size_z
      - .offset:         50
        .size:           2
        .value_kind:     hidden_remainder_x
      - .offset:         52
        .size:           2
        .value_kind:     hidden_remainder_y
      - .offset:         54
        .size:           2
        .value_kind:     hidden_remainder_z
      - .offset:         72
        .size:           8
        .value_kind:     hidden_global_offset_x
      - .offset:         80
        .size:           8
        .value_kind:     hidden_global_offset_y
      - .offset:         88
        .size:           8
        .value_kind:     hidden_global_offset_z
      - .offset:         96
        .size:           2
        .value_kind:     hidden_grid_dims
    .group_segment_fixed_size: 0
    .kernarg_segment_align: 8
    .kernarg_segment_size: 288
    .language:       OpenCL C
    .language_version:
      - 2
      - 0
    .max_flat_workgroup_size: 1024
    .name:           _Z24full_verify_gpu_kernel_2PKiPiS1_ii
    .private_segment_fixed_size: 0
    .sgpr_count:     14
    .sgpr_spill_count: 0
    .symbol:         _Z24full_verify_gpu_kernel_2PKiPiS1_ii.kd
    .uniform_work_group_size: 1
    .uses_dynamic_stack: false
    .vgpr_count:     5
    .vgpr_spill_count: 0
    .wavefront_size: 64
  - .args:
      - .actual_access:  read_only
        .address_space:  global
        .offset:         0
        .size:           8
        .value_kind:     global_buffer
      - .actual_access:  write_only
        .address_space:  global
        .offset:         8
        .size:           8
        .value_kind:     global_buffer
      - .offset:         16
        .size:           4
        .value_kind:     by_value
      - .offset:         20
        .size:           4
        .value_kind:     by_value
      - .offset:         24
        .size:           4
        .value_kind:     hidden_block_count_x
      - .offset:         28
        .size:           4
        .value_kind:     hidden_block_count_y
      - .offset:         32
        .size:           4
        .value_kind:     hidden_block_count_z
      - .offset:         36
        .size:           2
        .value_kind:     hidden_group_size_x
      - .offset:         38
        .size:           2
        .value_kind:     hidden_group_size_y
      - .offset:         40
        .size:           2
        .value_kind:     hidden_group_size_z
      - .offset:         42
        .size:           2
        .value_kind:     hidden_remainder_x
      - .offset:         44
        .size:           2
        .value_kind:     hidden_remainder_y
      - .offset:         46
        .size:           2
        .value_kind:     hidden_remainder_z
      - .offset:         64
        .size:           8
        .value_kind:     hidden_global_offset_x
      - .offset:         72
        .size:           8
        .value_kind:     hidden_global_offset_y
      - .offset:         80
        .size:           8
        .value_kind:     hidden_global_offset_z
      - .offset:         88
        .size:           2
        .value_kind:     hidden_grid_dims
      - .offset:         144
        .size:           4
        .value_kind:     hidden_dynamic_lds_size
    .group_segment_fixed_size: 0
    .kernarg_segment_align: 8
    .kernarg_segment_size: 280
    .language:       OpenCL C
    .language_version:
      - 2
      - 0
    .max_flat_workgroup_size: 1024
    .name:           _Z24full_verify_gpu_kernel_3PKiPiii
    .private_segment_fixed_size: 0
    .sgpr_count:     12
    .sgpr_spill_count: 0
    .symbol:         _Z24full_verify_gpu_kernel_3PKiPiii.kd
    .uniform_work_group_size: 1
    .uses_dynamic_stack: false
    .vgpr_count:     5
    .vgpr_spill_count: 0
    .wavefront_size: 64
  - .args:
      - .address_space:  global
        .offset:         0
        .size:           8
        .value_kind:     global_buffer
      - .actual_access:  write_only
        .address_space:  global
        .offset:         8
        .size:           8
        .value_kind:     global_buffer
      - .actual_access:  read_only
        .address_space:  global
        .offset:         16
        .size:           8
        .value_kind:     global_buffer
      - .offset:         24
        .size:           4
        .value_kind:     by_value
      - .offset:         28
        .size:           4
        .value_kind:     by_value
      - .offset:         32
        .size:           4
        .value_kind:     by_value
    .group_segment_fixed_size: 0
    .kernarg_segment_align: 8
    .kernarg_segment_size: 36
    .language:       OpenCL C
    .language_version:
      - 2
      - 0
    .max_flat_workgroup_size: 1024
    .name:           _Z17rank_gpu_kernel_1PiS_PKiiii
    .private_segment_fixed_size: 0
    .sgpr_count:     20
    .sgpr_spill_count: 0
    .symbol:         _Z17rank_gpu_kernel_1PiS_PKiiii.kd
    .uniform_work_group_size: 1
    .uses_dynamic_stack: false
    .vgpr_count:     6
    .vgpr_spill_count: 0
    .wavefront_size: 64
  - .args:
      - .address_space:  global
        .offset:         0
        .size:           8
        .value_kind:     global_buffer
      - .offset:         8
        .size:           4
        .value_kind:     by_value
      - .offset:         12
        .size:           4
        .value_kind:     by_value
      - .offset:         16
        .size:           4
        .value_kind:     hidden_block_count_x
      - .offset:         20
        .size:           4
        .value_kind:     hidden_block_count_y
      - .offset:         24
        .size:           4
        .value_kind:     hidden_block_count_z
      - .offset:         28
        .size:           2
        .value_kind:     hidden_group_size_x
      - .offset:         30
        .size:           2
        .value_kind:     hidden_group_size_y
      - .offset:         32
        .size:           2
        .value_kind:     hidden_group_size_z
      - .offset:         34
        .size:           2
        .value_kind:     hidden_remainder_x
      - .offset:         36
        .size:           2
        .value_kind:     hidden_remainder_y
      - .offset:         38
        .size:           2
        .value_kind:     hidden_remainder_z
      - .offset:         56
        .size:           8
        .value_kind:     hidden_global_offset_x
      - .offset:         64
        .size:           8
        .value_kind:     hidden_global_offset_y
      - .offset:         72
        .size:           8
        .value_kind:     hidden_global_offset_z
      - .offset:         80
        .size:           2
        .value_kind:     hidden_grid_dims
    .group_segment_fixed_size: 0
    .kernarg_segment_align: 8
    .kernarg_segment_size: 272
    .language:       OpenCL C
    .language_version:
      - 2
      - 0
    .max_flat_workgroup_size: 1024
    .name:           _Z17rank_gpu_kernel_2Piii
    .private_segment_fixed_size: 0
    .sgpr_count:     11
    .sgpr_spill_count: 0
    .symbol:         _Z17rank_gpu_kernel_2Piii.kd
    .uniform_work_group_size: 1
    .uses_dynamic_stack: false
    .vgpr_count:     4
    .vgpr_spill_count: 0
    .wavefront_size: 64
  - .args:
      - .address_space:  global
        .offset:         0
        .size:           8
        .value_kind:     global_buffer
      - .actual_access:  read_only
        .address_space:  global
        .offset:         8
        .size:           8
        .value_kind:     global_buffer
      - .offset:         16
        .size:           4
        .value_kind:     by_value
      - .offset:         20
        .size:           4
        .value_kind:     by_value
      - .offset:         24
        .size:           4
        .value_kind:     hidden_block_count_x
      - .offset:         28
        .size:           4
        .value_kind:     hidden_block_count_y
      - .offset:         32
        .size:           4
        .value_kind:     hidden_block_count_z
      - .offset:         36
        .size:           2
        .value_kind:     hidden_group_size_x
      - .offset:         38
        .size:           2
        .value_kind:     hidden_group_size_y
      - .offset:         40
        .size:           2
        .value_kind:     hidden_group_size_z
      - .offset:         42
        .size:           2
        .value_kind:     hidden_remainder_x
      - .offset:         44
        .size:           2
        .value_kind:     hidden_remainder_y
      - .offset:         46
        .size:           2
        .value_kind:     hidden_remainder_z
      - .offset:         64
        .size:           8
        .value_kind:     hidden_global_offset_x
      - .offset:         72
        .size:           8
        .value_kind:     hidden_global_offset_y
      - .offset:         80
        .size:           8
        .value_kind:     hidden_global_offset_z
      - .offset:         88
        .size:           2
        .value_kind:     hidden_grid_dims
    .group_segment_fixed_size: 0
    .kernarg_segment_align: 8
    .kernarg_segment_size: 280
    .language:       OpenCL C
    .language_version:
      - 2
      - 0
    .max_flat_workgroup_size: 1024
    .name:           _Z17rank_gpu_kernel_3PiPKiii
    .private_segment_fixed_size: 0
    .sgpr_count:     12
    .sgpr_spill_count: 0
    .symbol:         _Z17rank_gpu_kernel_3PiPKiii.kd
    .uniform_work_group_size: 1
    .uses_dynamic_stack: false
    .vgpr_count:     3
    .vgpr_spill_count: 0
    .wavefront_size: 64
  - .args:
      - .actual_access:  read_only
        .address_space:  global
        .offset:         0
        .size:           8
        .value_kind:     global_buffer
      - .address_space:  global
        .offset:         8
        .size:           8
        .value_kind:     global_buffer
      - .actual_access:  write_only
        .address_space:  global
        .offset:         16
        .size:           8
        .value_kind:     global_buffer
      - .offset:         24
        .size:           4
        .value_kind:     by_value
      - .offset:         28
        .size:           4
        .value_kind:     by_value
      - .offset:         32
        .size:           4
        .value_kind:     hidden_block_count_x
      - .offset:         36
        .size:           4
        .value_kind:     hidden_block_count_y
      - .offset:         40
        .size:           4
        .value_kind:     hidden_block_count_z
      - .offset:         44
        .size:           2
        .value_kind:     hidden_group_size_x
      - .offset:         46
        .size:           2
        .value_kind:     hidden_group_size_y
      - .offset:         48
        .size:           2
        .value_kind:     hidden_group_size_z
      - .offset:         50
        .size:           2
        .value_kind:     hidden_remainder_x
      - .offset:         52
        .size:           2
        .value_kind:     hidden_remainder_y
      - .offset:         54
        .size:           2
        .value_kind:     hidden_remainder_z
      - .offset:         72
        .size:           8
        .value_kind:     hidden_global_offset_x
      - .offset:         80
        .size:           8
        .value_kind:     hidden_global_offset_y
      - .offset:         88
        .size:           8
        .value_kind:     hidden_global_offset_z
      - .offset:         96
        .size:           2
        .value_kind:     hidden_grid_dims
      - .offset:         152
        .size:           4
        .value_kind:     hidden_dynamic_lds_size
    .group_segment_fixed_size: 0
    .kernarg_segment_align: 8
    .kernarg_segment_size: 288
    .language:       OpenCL C
    .language_version:
      - 2
      - 0
    .max_flat_workgroup_size: 1024
    .name:           _Z17rank_gpu_kernel_4PKiPiS1_ii
    .private_segment_fixed_size: 0
    .sgpr_count:     20
    .sgpr_spill_count: 0
    .symbol:         _Z17rank_gpu_kernel_4PKiPiS1_ii.kd
    .uniform_work_group_size: 1
    .uses_dynamic_stack: false
    .vgpr_count:     11
    .vgpr_spill_count: 0
    .wavefront_size: 64
  - .args:
      - .actual_access:  read_only
        .address_space:  global
        .offset:         0
        .size:           8
        .value_kind:     global_buffer
      - .actual_access:  write_only
        .address_space:  global
        .offset:         8
        .size:           8
        .value_kind:     global_buffer
      - .offset:         16
        .size:           4
        .value_kind:     by_value
      - .offset:         20
        .size:           4
        .value_kind:     by_value
      - .offset:         24
        .size:           4
        .value_kind:     hidden_block_count_x
      - .offset:         28
        .size:           4
        .value_kind:     hidden_block_count_y
      - .offset:         32
        .size:           4
        .value_kind:     hidden_block_count_z
      - .offset:         36
        .size:           2
        .value_kind:     hidden_group_size_x
      - .offset:         38
        .size:           2
        .value_kind:     hidden_group_size_y
      - .offset:         40
        .size:           2
        .value_kind:     hidden_group_size_z
      - .offset:         42
        .size:           2
        .value_kind:     hidden_remainder_x
      - .offset:         44
        .size:           2
        .value_kind:     hidden_remainder_y
      - .offset:         46
        .size:           2
        .value_kind:     hidden_remainder_z
      - .offset:         64
        .size:           8
        .value_kind:     hidden_global_offset_x
      - .offset:         72
        .size:           8
        .value_kind:     hidden_global_offset_y
      - .offset:         80
        .size:           8
        .value_kind:     hidden_global_offset_z
      - .offset:         88
        .size:           2
        .value_kind:     hidden_grid_dims
      - .offset:         144
        .size:           4
        .value_kind:     hidden_dynamic_lds_size
    .group_segment_fixed_size: 0
    .kernarg_segment_align: 8
    .kernarg_segment_size: 280
    .language:       OpenCL C
    .language_version:
      - 2
      - 0
    .max_flat_workgroup_size: 1024
    .name:           _Z17rank_gpu_kernel_5PKiPiii
    .private_segment_fixed_size: 0
    .sgpr_count:     11
    .sgpr_spill_count: 0
    .symbol:         _Z17rank_gpu_kernel_5PKiPiii.kd
    .uniform_work_group_size: 1
    .uses_dynamic_stack: false
    .vgpr_count:     5
    .vgpr_spill_count: 0
    .wavefront_size: 64
  - .args:
      - .actual_access:  read_only
        .address_space:  global
        .offset:         0
        .size:           8
        .value_kind:     global_buffer
      - .actual_access:  write_only
        .address_space:  global
        .offset:         8
        .size:           8
        .value_kind:     global_buffer
      - .actual_access:  read_only
        .address_space:  global
        .offset:         16
        .size:           8
        .value_kind:     global_buffer
      - .offset:         24
        .size:           4
        .value_kind:     by_value
      - .offset:         28
        .size:           4
        .value_kind:     by_value
      - .offset:         32
        .size:           4
        .value_kind:     hidden_block_count_x
      - .offset:         36
        .size:           4
        .value_kind:     hidden_block_count_y
      - .offset:         40
        .size:           4
        .value_kind:     hidden_block_count_z
      - .offset:         44
        .size:           2
        .value_kind:     hidden_group_size_x
      - .offset:         46
        .size:           2
        .value_kind:     hidden_group_size_y
      - .offset:         48
        .size:           2
        .value_kind:     hidden_group_size_z
      - .offset:         50
        .size:           2
        .value_kind:     hidden_remainder_x
      - .offset:         52
        .size:           2
        .value_kind:     hidden_remainder_y
      - .offset:         54
        .size:           2
        .value_kind:     hidden_remainder_z
      - .offset:         72
        .size:           8
        .value_kind:     hidden_global_offset_x
      - .offset:         80
        .size:           8
        .value_kind:     hidden_global_offset_y
      - .offset:         88
        .size:           8
        .value_kind:     hidden_global_offset_z
      - .offset:         96
        .size:           2
        .value_kind:     hidden_grid_dims
    .group_segment_fixed_size: 0
    .kernarg_segment_align: 8
    .kernarg_segment_size: 288
    .language:       OpenCL C
    .language_version:
      - 2
      - 0
    .max_flat_workgroup_size: 1024
    .name:           _Z17rank_gpu_kernel_6PKiPiS0_ii
    .private_segment_fixed_size: 0
    .sgpr_count:     17
    .sgpr_spill_count: 0
    .symbol:         _Z17rank_gpu_kernel_6PKiPiS0_ii.kd
    .uniform_work_group_size: 1
    .uses_dynamic_stack: false
    .vgpr_count:     9
    .vgpr_spill_count: 0
    .wavefront_size: 64
  - .args:
      - .actual_access:  read_only
        .address_space:  global
        .offset:         0
        .size:           8
        .value_kind:     global_buffer
      - .actual_access:  read_only
        .address_space:  global
        .offset:         8
        .size:           8
        .value_kind:     global_buffer
      - .actual_access:  read_only
        .address_space:  global
        .offset:         16
        .size:           8
        .value_kind:     global_buffer
      - .address_space:  global
        .offset:         24
        .size:           8
        .value_kind:     global_buffer
      - .offset:         32
        .size:           4
        .value_kind:     by_value
      - .offset:         36
        .size:           4
        .value_kind:     by_value
      - .offset:         40
        .size:           4
        .value_kind:     by_value
    .group_segment_fixed_size: 0
    .kernarg_segment_align: 8
    .kernarg_segment_size: 44
    .language:       OpenCL C
    .language_version:
      - 2
      - 0
    .max_flat_workgroup_size: 1024
    .name:           _Z17rank_gpu_kernel_7PKiS0_S0_Piiii
    .private_segment_fixed_size: 0
    .sgpr_count:     18
    .sgpr_spill_count: 0
    .symbol:         _Z17rank_gpu_kernel_7PKiS0_S0_Piiii.kd
    .uniform_work_group_size: 1
    .uses_dynamic_stack: false
    .vgpr_count:     2
    .vgpr_spill_count: 0
    .wavefront_size: 64
amdhsa.target:   amdgcn-amd-amdhsa--gfx906
amdhsa.version:
  - 1
  - 2
...

	.end_amdgpu_metadata
